;; amdgpu-corpus repo=ROCm/rocFFT kind=compiled arch=gfx906 opt=O3
	.text
	.amdgcn_target "amdgcn-amd-amdhsa--gfx906"
	.amdhsa_code_object_version 6
	.protected	bluestein_single_fwd_len450_dim1_dp_op_CI_CI ; -- Begin function bluestein_single_fwd_len450_dim1_dp_op_CI_CI
	.globl	bluestein_single_fwd_len450_dim1_dp_op_CI_CI
	.p2align	8
	.type	bluestein_single_fwd_len450_dim1_dp_op_CI_CI,@function
bluestein_single_fwd_len450_dim1_dp_op_CI_CI: ; @bluestein_single_fwd_len450_dim1_dp_op_CI_CI
; %bb.0:
	s_load_dwordx4 s[8:11], s[4:5], 0x28
	v_mul_u32_u24_e32 v1, 0x889, v0
	s_mov_b64 s[30:31], s[2:3]
	v_lshrrev_b32_e32 v4, 16, v1
	s_mov_b64 s[28:29], s[0:1]
	v_lshl_add_u32 v31, s6, 2, v4
	v_mov_b32_e32 v32, 0
	s_add_u32 s28, s28, s7
	s_waitcnt lgkmcnt(0)
	v_cmp_gt_u64_e32 vcc, s[8:9], v[31:32]
	s_addc_u32 s29, s29, 0
	s_and_saveexec_b64 s[0:1], vcc
	s_cbranch_execz .LBB0_15
; %bb.1:
	s_load_dwordx4 s[0:3], s[4:5], 0x18
	s_load_dwordx2 s[20:21], s[4:5], 0x0
	v_mul_lo_u16_e32 v1, 30, v4
	v_sub_u16_e32 v250, v0, v1
	s_load_dwordx2 s[6:7], s[4:5], 0x38
	s_waitcnt lgkmcnt(0)
	s_load_dwordx4 s[12:15], s[0:1], 0x0
	s_waitcnt lgkmcnt(0)
	v_mad_u64_u32 v[0:1], s[0:1], s14, v31, 0
	v_mad_u64_u32 v[2:3], s[0:1], s12, v250, 0
	v_mad_u64_u32 v[5:6], s[0:1], s15, v31, v[1:2]
	v_mad_u64_u32 v[6:7], s[0:1], s13, v250, v[3:4]
	v_mov_b32_e32 v1, v5
	v_lshlrev_b64 v[0:1], 4, v[0:1]
	v_mov_b32_e32 v7, s11
	v_mov_b32_e32 v3, v6
	v_add_co_u32_e32 v5, vcc, s10, v0
	v_addc_co_u32_e32 v6, vcc, v7, v1, vcc
	v_lshlrev_b64 v[0:1], 4, v[2:3]
	v_lshlrev_b32_e32 v7, 4, v250
	v_add_co_u32_e32 v0, vcc, v5, v0
	v_addc_co_u32_e32 v1, vcc, v6, v1, vcc
	s_mul_i32 s0, s13, 45
	s_mul_hi_u32 s1, s12, 45
	v_mov_b32_e32 v2, s21
	v_add_co_u32_e32 v248, vcc, s20, v7
	s_add_i32 s1, s1, s0
	s_mul_i32 s0, s12, 45
	v_addc_co_u32_e32 v249, vcc, 0, v2, vcc
	s_lshl_b64 s[14:15], s[0:1], 4
	v_mov_b32_e32 v5, s15
	v_add_co_u32_e32 v2, vcc, s14, v0
	v_addc_co_u32_e32 v3, vcc, v1, v5, vcc
	global_load_dwordx4 v[40:43], v[0:1], off
	global_load_dwordx4 v[44:47], v[2:3], off
	global_load_dwordx4 v[36:39], v7, s[20:21]
	global_load_dwordx4 v[86:89], v7, s[20:21] offset:720
	v_add_co_u32_e32 v0, vcc, s14, v2
	v_addc_co_u32_e32 v1, vcc, v3, v5, vcc
	v_add_co_u32_e32 v2, vcc, s14, v0
	v_addc_co_u32_e32 v3, vcc, v1, v5, vcc
	global_load_dwordx4 v[48:51], v[0:1], off
	global_load_dwordx4 v[52:55], v[2:3], off
	global_load_dwordx4 v[32:35], v7, s[20:21] offset:1440
	global_load_dwordx4 v[16:19], v7, s[20:21] offset:2160
	v_add_co_u32_e32 v0, vcc, s14, v2
	v_addc_co_u32_e32 v1, vcc, v3, v5, vcc
	global_load_dwordx4 v[56:59], v[0:1], off
	v_add_co_u32_e32 v0, vcc, s14, v0
	v_addc_co_u32_e32 v1, vcc, v1, v5, vcc
	v_add_co_u32_e32 v2, vcc, s14, v0
	v_addc_co_u32_e32 v3, vcc, v1, v5, vcc
	s_movk_i32 s0, 0x1000
	global_load_dwordx4 v[60:63], v[0:1], off
	global_load_dwordx4 v[92:95], v7, s[20:21] offset:2880
	global_load_dwordx4 v[12:15], v7, s[20:21] offset:3600
	v_add_co_u32_e32 v0, vcc, s0, v248
	v_addc_co_u32_e32 v1, vcc, 0, v249, vcc
	global_load_dwordx4 v[64:67], v[2:3], off
	v_add_co_u32_e32 v2, vcc, s14, v2
	v_addc_co_u32_e32 v3, vcc, v3, v5, vcc
	global_load_dwordx4 v[68:71], v[2:3], off
	global_load_dwordx4 v[96:99], v[0:1], off offset:224
	global_load_dwordx4 v[8:11], v[0:1], off offset:944
	v_add_co_u32_e32 v2, vcc, s14, v2
	v_addc_co_u32_e32 v3, vcc, v3, v5, vcc
	global_load_dwordx4 v[72:75], v[2:3], off
	v_add_co_u32_e32 v2, vcc, s14, v2
	v_addc_co_u32_e32 v3, vcc, v3, v5, vcc
	v_and_b32_e32 v4, 3, v4
	v_mul_u32_u24_e32 v4, 0x1c2, v4
	global_load_dwordx4 v[20:23], v[0:1], off offset:1664
	global_load_dwordx4 v[24:27], v[0:1], off offset:2384
	global_load_dwordx4 v[76:79], v[2:3], off
	v_lshlrev_b32_e32 v28, 4, v4
	v_add_u32_e32 v255, v28, v7
	v_cmp_gt_u16_e64 s[0:1], 15, v250
	s_waitcnt vmcnt(17)
	v_mul_f64 v[5:6], v[42:43], v[38:39]
	s_waitcnt vmcnt(16)
	v_mul_f64 v[82:83], v[46:47], v[88:89]
	v_mul_f64 v[80:81], v[40:41], v[38:39]
	;; [unrolled: 1-line block ×3, first 2 shown]
	v_fma_f64 v[4:5], v[40:41], v[36:37], v[5:6]
	v_fma_f64 v[40:41], v[44:45], v[86:87], v[82:83]
	buffer_store_dword v86, off, s[28:31], 0 offset:112 ; 4-byte Folded Spill
	s_nop 0
	buffer_store_dword v87, off, s[28:31], 0 offset:116 ; 4-byte Folded Spill
	buffer_store_dword v88, off, s[28:31], 0 offset:120 ; 4-byte Folded Spill
	buffer_store_dword v89, off, s[28:31], 0 offset:124 ; 4-byte Folded Spill
	v_fma_f64 v[6:7], v[42:43], v[36:37], -v[80:81]
	s_waitcnt vmcnt(16)
	v_mul_f64 v[80:81], v[54:55], v[18:19]
	v_mul_f64 v[44:45], v[50:51], v[34:35]
	s_load_dwordx4 s[8:11], s[2:3], 0x0
	v_mul_f64 v[82:83], v[52:53], v[18:19]
	s_waitcnt vmcnt(12)
	v_mul_f64 v[88:89], v[62:63], v[14:15]
	v_mul_f64 v[90:91], v[60:61], v[14:15]
	v_fma_f64 v[42:43], v[46:47], v[86:87], -v[84:85]
	v_mul_f64 v[84:85], v[58:59], v[94:95]
	ds_write_b128 v255, v[4:7]
	ds_write_b128 v255, v[40:43] offset:720
	v_fma_f64 v[40:41], v[52:53], v[16:17], v[80:81]
	buffer_store_dword v16, off, s[28:31], 0 offset:32 ; 4-byte Folded Spill
	s_nop 0
	buffer_store_dword v17, off, s[28:31], 0 offset:36 ; 4-byte Folded Spill
	buffer_store_dword v18, off, s[28:31], 0 offset:40 ; 4-byte Folded Spill
	;; [unrolled: 1-line block ×3, first 2 shown]
	v_mul_f64 v[86:87], v[56:57], v[94:95]
	v_fma_f64 v[4:5], v[48:49], v[32:33], v[44:45]
	v_fma_f64 v[44:45], v[56:57], v[92:93], v[84:85]
	buffer_store_dword v92, off, s[28:31], 0 offset:80 ; 4-byte Folded Spill
	s_nop 0
	buffer_store_dword v93, off, s[28:31], 0 offset:84 ; 4-byte Folded Spill
	buffer_store_dword v94, off, s[28:31], 0 offset:88 ; 4-byte Folded Spill
	buffer_store_dword v95, off, s[28:31], 0 offset:92 ; 4-byte Folded Spill
	v_mul_f64 v[46:47], v[48:49], v[34:35]
	v_fma_f64 v[48:49], v[60:61], v[12:13], v[88:89]
	buffer_store_dword v12, off, s[28:31], 0 offset:16 ; 4-byte Folded Spill
	s_nop 0
	buffer_store_dword v13, off, s[28:31], 0 offset:20 ; 4-byte Folded Spill
	buffer_store_dword v14, off, s[28:31], 0 offset:24 ; 4-byte Folded Spill
	;; [unrolled: 1-line block ×3, first 2 shown]
	s_waitcnt vmcnt(21)
	v_mul_f64 v[52:53], v[66:67], v[98:99]
	s_waitcnt vmcnt(20)
	v_mul_f64 v[56:57], v[70:71], v[10:11]
	;; [unrolled: 2-line block ×4, first 2 shown]
	v_fma_f64 v[6:7], v[50:51], v[32:33], -v[46:47]
	v_fma_f64 v[52:53], v[64:65], v[96:97], v[52:53]
	v_fma_f64 v[56:57], v[68:69], v[8:9], v[56:57]
	;; [unrolled: 1-line block ×3, first 2 shown]
	v_fma_f64 v[42:43], v[54:55], v[16:17], -v[82:83]
	v_mul_f64 v[54:55], v[64:65], v[98:99]
	buffer_store_dword v96, off, s[28:31], 0 offset:96 ; 4-byte Folded Spill
	s_nop 0
	buffer_store_dword v97, off, s[28:31], 0 offset:100 ; 4-byte Folded Spill
	buffer_store_dword v98, off, s[28:31], 0 offset:104 ; 4-byte Folded Spill
	buffer_store_dword v99, off, s[28:31], 0 offset:108 ; 4-byte Folded Spill
	v_mul_f64 v[82:83], v[76:77], v[26:27]
	v_fma_f64 v[46:47], v[58:59], v[92:93], -v[86:87]
	v_mul_f64 v[58:59], v[68:69], v[10:11]
	buffer_store_dword v8, off, s[28:31], 0 ; 4-byte Folded Spill
	s_nop 0
	buffer_store_dword v9, off, s[28:31], 0 offset:4 ; 4-byte Folded Spill
	buffer_store_dword v10, off, s[28:31], 0 offset:8 ; 4-byte Folded Spill
	;; [unrolled: 1-line block ×3, first 2 shown]
	v_fma_f64 v[50:51], v[62:63], v[12:13], -v[90:91]
	v_mul_f64 v[62:63], v[72:73], v[22:23]
	buffer_store_dword v20, off, s[28:31], 0 offset:48 ; 4-byte Folded Spill
	s_nop 0
	buffer_store_dword v21, off, s[28:31], 0 offset:52 ; 4-byte Folded Spill
	buffer_store_dword v22, off, s[28:31], 0 offset:56 ; 4-byte Folded Spill
	;; [unrolled: 1-line block ×3, first 2 shown]
	v_fma_f64 v[64:65], v[76:77], v[24:25], v[80:81]
	buffer_store_dword v24, off, s[28:31], 0 offset:64 ; 4-byte Folded Spill
	s_nop 0
	buffer_store_dword v25, off, s[28:31], 0 offset:68 ; 4-byte Folded Spill
	buffer_store_dword v26, off, s[28:31], 0 offset:72 ; 4-byte Folded Spill
	;; [unrolled: 1-line block ×3, first 2 shown]
	v_fma_f64 v[54:55], v[66:67], v[96:97], -v[54:55]
	v_fma_f64 v[58:59], v[70:71], v[8:9], -v[58:59]
	;; [unrolled: 1-line block ×4, first 2 shown]
	ds_write_b128 v255, v[4:7] offset:1440
	ds_write_b128 v255, v[40:43] offset:2160
	;; [unrolled: 1-line block ×8, first 2 shown]
	s_and_saveexec_b64 s[2:3], s[0:1]
	s_cbranch_execz .LBB0_3
; %bb.2:
	v_mov_b32_e32 v4, 0xffffe890
	v_mad_u64_u32 v[6:7], s[16:17], s12, v4, v[2:3]
	s_mulk_i32 s13, 0xe890
	s_sub_i32 s12, s13, s12
	v_add_u32_e32 v7, s12, v7
	global_load_dwordx4 v[2:5], v[6:7], off
	v_mov_b32_e32 v8, s15
	v_add_co_u32_e32 v6, vcc, s14, v6
	v_addc_co_u32_e32 v7, vcc, v7, v8, vcc
	global_load_dwordx4 v[40:43], v[6:7], off
	global_load_dwordx4 v[44:47], v[248:249], off offset:480
	global_load_dwordx4 v[48:51], v[248:249], off offset:1200
	v_add_co_u32_e32 v6, vcc, s14, v6
	v_addc_co_u32_e32 v7, vcc, v7, v8, vcc
	global_load_dwordx4 v[52:55], v[6:7], off
	v_add_co_u32_e32 v6, vcc, s14, v6
	v_addc_co_u32_e32 v7, vcc, v7, v8, vcc
	global_load_dwordx4 v[56:59], v[6:7], off
	global_load_dwordx4 v[60:63], v[248:249], off offset:1920
	global_load_dwordx4 v[64:67], v[248:249], off offset:2640
	v_add_co_u32_e32 v6, vcc, s14, v6
	v_addc_co_u32_e32 v7, vcc, v7, v8, vcc
	global_load_dwordx4 v[68:71], v[6:7], off
	;; [unrolled: 8-line block ×4, first 2 shown]
	global_load_dwordx4 v[104:107], v[0:1], off offset:2144
	v_add_co_u32_e32 v6, vcc, s14, v6
	v_addc_co_u32_e32 v7, vcc, v7, v8, vcc
	global_load_dwordx4 v[108:111], v[0:1], off offset:2864
	global_load_dwordx4 v[112:115], v[6:7], off
	s_waitcnt vmcnt(17)
	v_mul_f64 v[0:1], v[4:5], v[46:47]
	v_mul_f64 v[6:7], v[2:3], v[46:47]
	s_waitcnt vmcnt(16)
	v_mul_f64 v[46:47], v[42:43], v[50:51]
	v_mul_f64 v[50:51], v[40:41], v[50:51]
	v_fma_f64 v[0:1], v[2:3], v[44:45], v[0:1]
	v_fma_f64 v[2:3], v[4:5], v[44:45], -v[6:7]
	s_waitcnt vmcnt(13)
	v_mul_f64 v[116:117], v[54:55], v[62:63]
	v_mul_f64 v[62:63], v[52:53], v[62:63]
	s_waitcnt vmcnt(12)
	v_mul_f64 v[118:119], v[58:59], v[66:67]
	v_mul_f64 v[66:67], v[56:57], v[66:67]
	v_fma_f64 v[4:5], v[40:41], v[48:49], v[46:47]
	v_fma_f64 v[6:7], v[42:43], v[48:49], -v[50:51]
	ds_write_b128 v255, v[0:3] offset:480
	v_fma_f64 v[40:41], v[52:53], v[60:61], v[116:117]
	v_fma_f64 v[42:43], v[54:55], v[60:61], -v[62:63]
	s_waitcnt vmcnt(9)
	v_mul_f64 v[120:121], v[70:71], v[78:79]
	v_mul_f64 v[78:79], v[68:69], v[78:79]
	s_waitcnt vmcnt(8)
	v_mul_f64 v[122:123], v[74:75], v[82:83]
	v_mul_f64 v[82:83], v[72:73], v[82:83]
	v_fma_f64 v[44:45], v[56:57], v[64:65], v[118:119]
	v_fma_f64 v[46:47], v[58:59], v[64:65], -v[66:67]
	ds_write_b128 v255, v[4:7] offset:1200
	v_fma_f64 v[48:49], v[68:69], v[76:77], v[120:121]
	v_fma_f64 v[50:51], v[70:71], v[76:77], -v[78:79]
	s_waitcnt vmcnt(5)
	v_mul_f64 v[124:125], v[86:87], v[94:95]
	v_mul_f64 v[94:95], v[84:85], v[94:95]
	s_waitcnt vmcnt(4)
	v_mul_f64 v[126:127], v[90:91], v[98:99]
	v_mul_f64 v[98:99], v[88:89], v[98:99]
	v_fma_f64 v[52:53], v[72:73], v[80:81], v[122:123]
	v_fma_f64 v[54:55], v[74:75], v[80:81], -v[82:83]
	s_waitcnt vmcnt(2)
	v_mul_f64 v[128:129], v[102:103], v[106:107]
	v_mul_f64 v[106:107], v[100:101], v[106:107]
	v_fma_f64 v[56:57], v[84:85], v[92:93], v[124:125]
	v_fma_f64 v[58:59], v[86:87], v[92:93], -v[94:95]
	v_fma_f64 v[60:61], v[88:89], v[96:97], v[126:127]
	s_waitcnt vmcnt(0)
	v_mul_f64 v[130:131], v[114:115], v[110:111]
	v_mul_f64 v[110:111], v[112:113], v[110:111]
	v_fma_f64 v[62:63], v[90:91], v[96:97], -v[98:99]
	v_fma_f64 v[0:1], v[100:101], v[104:105], v[128:129]
	v_fma_f64 v[2:3], v[102:103], v[104:105], -v[106:107]
	v_fma_f64 v[4:5], v[112:113], v[108:109], v[130:131]
	v_fma_f64 v[6:7], v[114:115], v[108:109], -v[110:111]
	ds_write_b128 v255, v[40:43] offset:1920
	ds_write_b128 v255, v[44:47] offset:2640
	;; [unrolled: 1-line block ×8, first 2 shown]
.LBB0_3:
	s_or_b64 exec, exec, s[2:3]
	s_waitcnt vmcnt(0) lgkmcnt(0)
	s_barrier
	ds_read_b128 v[116:119], v255
	ds_read_b128 v[96:99], v255 offset:720
	ds_read_b128 v[100:103], v255 offset:1440
	ds_read_b128 v[92:95], v255 offset:2160
	ds_read_b128 v[104:107], v255 offset:2880
	ds_read_b128 v[88:91], v255 offset:3600
	ds_read_b128 v[108:111], v255 offset:4320
	ds_read_b128 v[84:87], v255 offset:5040
	ds_read_b128 v[112:115], v255 offset:5760
	ds_read_b128 v[80:83], v255 offset:6480
	s_load_dwordx2 s[2:3], s[4:5], 0x8
                                        ; implicit-def: $vgpr56_vgpr57
                                        ; implicit-def: $vgpr40_vgpr41
                                        ; implicit-def: $vgpr64_vgpr65
                                        ; implicit-def: $vgpr44_vgpr45
                                        ; implicit-def: $vgpr68_vgpr69
                                        ; implicit-def: $vgpr48_vgpr49
                                        ; implicit-def: $vgpr72_vgpr73
                                        ; implicit-def: $vgpr52_vgpr53
                                        ; implicit-def: $vgpr76_vgpr77
                                        ; implicit-def: $vgpr60_vgpr61
	s_and_saveexec_b64 s[4:5], s[0:1]
	s_cbranch_execz .LBB0_5
; %bb.4:
	ds_read_b128 v[56:59], v255 offset:480
	ds_read_b128 v[40:43], v255 offset:1200
	;; [unrolled: 1-line block ×10, first 2 shown]
.LBB0_5:
	s_or_b64 exec, exec, s[4:5]
	s_waitcnt lgkmcnt(0)
	v_add_f64 v[2:3], v[116:117], v[100:101]
	v_add_f64 v[0:1], v[104:105], v[108:109]
	v_add_f64 v[4:5], v[102:103], -v[114:115]
	v_add_f64 v[126:127], v[100:101], v[112:113]
	s_mov_b32 s12, 0x134454ff
	s_mov_b32 s13, 0x3fee6f0e
	;; [unrolled: 1-line block ×4, first 2 shown]
	v_add_f64 v[2:3], v[2:3], v[104:105]
	v_fma_f64 v[0:1], v[0:1], -0.5, v[116:117]
	v_add_f64 v[120:121], v[106:107], -v[110:111]
	v_add_f64 v[122:123], v[100:101], -v[104:105]
	;; [unrolled: 1-line block ×3, first 2 shown]
	v_add_f64 v[130:131], v[106:107], v[110:111]
	v_fma_f64 v[116:117], v[126:127], -0.5, v[116:117]
	v_add_f64 v[126:127], v[118:119], v[102:103]
	v_add_f64 v[2:3], v[2:3], v[108:109]
	v_fma_f64 v[128:129], v[4:5], s[12:13], v[0:1]
	v_fma_f64 v[0:1], v[4:5], s[16:17], v[0:1]
	v_add_f64 v[132:133], v[100:101], -v[112:113]
	v_add_f64 v[100:101], v[104:105], -v[100:101]
	s_mov_b32 s14, 0x4755a5e
	s_mov_b32 s15, 0x3fe2cf23
	;; [unrolled: 1-line block ×3, first 2 shown]
	v_add_f64 v[2:3], v[2:3], v[112:113]
	v_add_f64 v[112:113], v[108:109], -v[112:113]
	s_mov_b32 s18, s14
	v_add_f64 v[122:123], v[122:123], v[124:125]
	v_fma_f64 v[124:125], v[120:121], s[14:15], v[128:129]
	v_fma_f64 v[128:129], v[120:121], s[16:17], v[116:117]
	v_fma_f64 v[130:131], v[130:131], -0.5, v[118:119]
	v_fma_f64 v[0:1], v[120:121], s[18:19], v[0:1]
	v_fma_f64 v[116:117], v[120:121], s[12:13], v[116:117]
	v_add_f64 v[120:121], v[126:127], v[106:107]
	v_add_f64 v[100:101], v[100:101], v[112:113]
	;; [unrolled: 1-line block ×3, first 2 shown]
	v_add_f64 v[104:105], v[104:105], -v[108:109]
	v_fma_f64 v[128:129], v[4:5], s[14:15], v[128:129]
	v_fma_f64 v[126:127], v[132:133], s[16:17], v[130:131]
	s_mov_b32 s4, 0x372fe950
	v_fma_f64 v[4:5], v[4:5], s[18:19], v[116:117]
	v_add_f64 v[116:117], v[120:121], v[110:111]
	v_add_f64 v[120:121], v[88:89], v[84:85]
	v_fma_f64 v[112:113], v[112:113], -0.5, v[118:119]
	s_mov_b32 s5, 0x3fd3c6ef
	v_fma_f64 v[124:125], v[122:123], s[4:5], v[124:125]
	v_add_f64 v[108:109], v[102:103], -v[106:107]
	v_add_f64 v[134:135], v[114:115], -v[110:111]
	v_fma_f64 v[0:1], v[122:123], s[4:5], v[0:1]
	v_fma_f64 v[122:123], v[104:105], s[18:19], v[126:127]
	;; [unrolled: 1-line block ×4, first 2 shown]
	v_add_f64 v[118:119], v[116:117], v[114:115]
	v_add_f64 v[100:101], v[96:97], v[92:93]
	v_fma_f64 v[116:117], v[120:121], -0.5, v[96:97]
	v_add_f64 v[120:121], v[94:95], -v[82:83]
	v_fma_f64 v[128:129], v[132:133], s[12:13], v[130:131]
	v_fma_f64 v[130:131], v[104:105], s[12:13], v[112:113]
	v_add_f64 v[102:103], v[106:107], -v[102:103]
	v_add_f64 v[106:107], v[110:111], -v[114:115]
	v_fma_f64 v[110:111], v[104:105], s[16:17], v[112:113]
	v_add_f64 v[108:109], v[108:109], v[134:135]
	v_add_f64 v[100:101], v[100:101], v[88:89]
	v_fma_f64 v[112:113], v[120:121], s[12:13], v[116:117]
	v_add_f64 v[114:115], v[90:91], -v[86:87]
	v_add_f64 v[134:135], v[92:93], -v[88:89]
	;; [unrolled: 1-line block ×3, first 2 shown]
	v_fma_f64 v[104:105], v[104:105], s[14:15], v[128:129]
	v_add_f64 v[128:129], v[92:93], v[80:81]
	v_fma_f64 v[130:131], v[132:133], s[18:19], v[130:131]
	v_add_f64 v[102:103], v[102:103], v[106:107]
	v_fma_f64 v[106:107], v[132:133], s[14:15], v[110:111]
	v_fma_f64 v[122:123], v[108:109], s[4:5], v[122:123]
	v_add_f64 v[100:101], v[100:101], v[84:85]
	v_fma_f64 v[110:111], v[114:115], s[14:15], v[112:113]
	v_add_f64 v[112:113], v[134:135], v[136:137]
	v_fma_f64 v[134:135], v[108:109], s[4:5], v[104:105]
	v_fma_f64 v[96:97], v[128:129], -0.5, v[96:97]
	v_add_f64 v[108:109], v[90:91], v[86:87]
	v_fma_f64 v[130:131], v[102:103], s[4:5], v[130:131]
	v_fma_f64 v[136:137], v[102:103], s[4:5], v[106:107]
	v_add_f64 v[102:103], v[94:95], v[82:83]
	v_fma_f64 v[104:105], v[120:121], s[16:17], v[116:117]
	v_add_f64 v[116:117], v[100:101], v[80:81]
	v_fma_f64 v[100:101], v[112:113], s[4:5], v[110:111]
	v_fma_f64 v[106:107], v[114:115], s[16:17], v[96:97]
	v_fma_f64 v[108:109], v[108:109], -0.5, v[98:99]
	v_add_f64 v[110:111], v[92:93], -v[80:81]
	v_add_f64 v[92:93], v[88:89], -v[92:93]
	;; [unrolled: 1-line block ×4, first 2 shown]
	v_fma_f64 v[88:89], v[102:103], -0.5, v[98:99]
	v_fma_f64 v[96:97], v[114:115], s[12:13], v[96:97]
	v_add_f64 v[98:99], v[98:99], v[94:95]
	v_fma_f64 v[104:105], v[114:115], s[18:19], v[104:105]
	v_fma_f64 v[102:103], v[120:121], s[14:15], v[106:107]
	;; [unrolled: 1-line block ×3, first 2 shown]
	v_add_f64 v[114:115], v[94:95], -v[90:91]
	v_add_f64 v[128:129], v[82:83], -v[86:87]
	v_add_f64 v[80:81], v[92:93], v[80:81]
	v_fma_f64 v[92:93], v[84:85], s[12:13], v[88:89]
	v_add_f64 v[94:95], v[90:91], -v[94:95]
	v_add_f64 v[132:133], v[86:87], -v[82:83]
	v_fma_f64 v[96:97], v[120:121], s[18:19], v[96:97]
	v_add_f64 v[90:91], v[98:99], v[90:91]
	v_fma_f64 v[108:109], v[110:111], s[12:13], v[108:109]
	v_fma_f64 v[88:89], v[84:85], s[16:17], v[88:89]
	;; [unrolled: 1-line block ×3, first 2 shown]
	v_add_f64 v[106:107], v[114:115], v[128:129]
	v_fma_f64 v[92:93], v[110:111], s[18:19], v[92:93]
	v_add_f64 v[94:95], v[94:95], v[132:133]
	v_fma_f64 v[104:105], v[112:113], s[4:5], v[104:105]
	v_fma_f64 v[102:103], v[80:81], s[4:5], v[102:103]
	v_fma_f64 v[80:81], v[80:81], s[4:5], v[96:97]
	v_add_f64 v[86:87], v[90:91], v[86:87]
	v_fma_f64 v[84:85], v[84:85], s[14:15], v[108:109]
	v_fma_f64 v[88:89], v[110:111], s[14:15], v[88:89]
	v_add_co_u32_e32 v6, vcc, 30, v250
	v_addc_co_u32_e64 v7, s[22:23], 0, 0, vcc
	s_mov_b32 s22, 0x9b97f4a8
	s_mov_b32 s23, 0x3fe9e377
	v_fma_f64 v[90:91], v[106:107], s[4:5], v[98:99]
	v_fma_f64 v[92:93], v[94:95], s[4:5], v[92:93]
	v_mul_f64 v[98:99], v[100:101], s[22:23]
	v_add_f64 v[82:83], v[86:87], v[82:83]
	v_fma_f64 v[84:85], v[106:107], s[4:5], v[84:85]
	v_fma_f64 v[86:87], v[94:95], s[4:5], v[88:89]
	v_mul_f64 v[94:95], v[80:81], s[4:5]
	v_mul_f64 v[106:107], v[104:105], s[22:23]
	;; [unrolled: 1-line block ×4, first 2 shown]
	v_fma_f64 v[120:121], v[90:91], s[14:15], v[98:99]
	v_mul_f64 v[98:99], v[100:101], s[18:19]
	v_mul_f64 v[112:113], v[84:85], s[22:23]
	v_mul_f64 v[110:111], v[86:87], s[4:5]
	v_fma_f64 v[86:87], v[86:87], s[12:13], -v[94:95]
	v_fma_f64 v[84:85], v[84:85], s[14:15], -v[106:107]
	v_add_f64 v[138:139], v[68:69], v[72:73]
	v_fma_f64 v[88:89], v[102:103], s[4:5], v[88:89]
	v_fma_f64 v[92:93], v[92:93], s[4:5], v[108:109]
	;; [unrolled: 1-line block ×3, first 2 shown]
	v_fma_f64 v[94:95], v[104:105], s[18:19], -v[112:113]
	v_fma_f64 v[80:81], v[80:81], s[16:17], -v[110:111]
	v_add_f64 v[108:109], v[4:5], v[86:87]
	v_add_f64 v[112:113], v[0:1], v[84:85]
	v_add_f64 v[98:99], v[118:119], v[82:83]
	v_add_f64 v[128:129], v[4:5], -v[86:87]
	v_add_f64 v[132:133], v[0:1], -v[84:85]
	v_add_f64 v[0:1], v[64:65], v[76:77]
	v_add_f64 v[118:119], v[118:119], -v[82:83]
	v_fma_f64 v[4:5], v[138:139], -0.5, v[56:57]
	v_add_f64 v[82:83], v[66:67], -v[78:79]
	v_add_f64 v[96:97], v[2:3], v[116:117]
	v_add_f64 v[100:101], v[124:125], v[120:121]
	;; [unrolled: 1-line block ×5, first 2 shown]
	v_add_f64 v[116:117], v[2:3], -v[116:117]
	v_add_f64 v[2:3], v[56:57], v[64:65]
	v_add_f64 v[120:121], v[124:125], -v[120:121]
	v_add_f64 v[124:125], v[126:127], -v[88:89]
	v_add_f64 v[126:127], v[130:131], -v[92:93]
	v_add_f64 v[84:85], v[70:71], -v[74:75]
	v_fma_f64 v[0:1], v[0:1], -0.5, v[56:57]
	v_add_f64 v[130:131], v[136:137], -v[80:81]
	v_fma_f64 v[56:57], v[82:83], s[12:13], v[4:5]
	v_add_f64 v[80:81], v[64:65], -v[68:69]
	v_add_f64 v[86:87], v[76:77], -v[72:73]
	v_fma_f64 v[4:5], v[82:83], s[16:17], v[4:5]
	v_add_f64 v[102:103], v[122:123], v[90:91]
	v_add_f64 v[114:115], v[134:135], v[94:95]
	;; [unrolled: 1-line block ×3, first 2 shown]
	v_add_f64 v[122:123], v[122:123], -v[90:91]
	v_add_f64 v[134:135], v[134:135], -v[94:95]
	v_fma_f64 v[88:89], v[84:85], s[16:17], v[0:1]
	v_add_f64 v[90:91], v[68:69], -v[64:65]
	v_add_f64 v[92:93], v[72:73], -v[76:77]
	v_add_f64 v[94:95], v[58:59], v[66:67]
	v_add_f64 v[136:137], v[70:71], v[74:75]
	v_fma_f64 v[56:57], v[84:85], s[14:15], v[56:57]
	v_add_f64 v[80:81], v[80:81], v[86:87]
	v_fma_f64 v[0:1], v[84:85], s[12:13], v[0:1]
	v_fma_f64 v[4:5], v[84:85], s[18:19], v[4:5]
	v_add_f64 v[2:3], v[2:3], v[72:73]
	v_fma_f64 v[84:85], v[82:83], s[14:15], v[88:89]
	v_add_f64 v[86:87], v[90:91], v[92:93]
	v_add_f64 v[88:89], v[94:95], v[70:71]
	v_fma_f64 v[90:91], v[136:137], -0.5, v[58:59]
	v_add_f64 v[64:65], v[64:65], -v[76:77]
	v_fma_f64 v[82:83], v[82:83], s[18:19], v[0:1]
	v_fma_f64 v[56:57], v[80:81], s[4:5], v[56:57]
	;; [unrolled: 1-line block ×3, first 2 shown]
	v_add_f64 v[80:81], v[66:67], v[78:79]
	v_add_f64 v[2:3], v[2:3], v[76:77]
	v_fma_f64 v[76:77], v[86:87], s[4:5], v[84:85]
	v_add_f64 v[4:5], v[88:89], v[74:75]
	v_fma_f64 v[84:85], v[64:65], s[16:17], v[90:91]
	v_add_f64 v[72:73], v[68:69], -v[72:73]
	v_fma_f64 v[68:69], v[86:87], s[4:5], v[82:83]
	v_add_f64 v[86:87], v[66:67], -v[70:71]
	v_add_f64 v[88:89], v[78:79], -v[74:75]
	v_fma_f64 v[90:91], v[64:65], s[12:13], v[90:91]
	v_fma_f64 v[80:81], v[80:81], -0.5, v[58:59]
	v_add_f64 v[82:83], v[48:49], v[52:53]
	v_add_f64 v[58:59], v[4:5], v[78:79]
	v_fma_f64 v[4:5], v[72:73], s[18:19], v[84:85]
	v_add_f64 v[84:85], v[40:41], v[44:45]
	v_add_f64 v[66:67], v[70:71], -v[66:67]
	v_add_f64 v[86:87], v[86:87], v[88:89]
	v_fma_f64 v[88:89], v[72:73], s[14:15], v[90:91]
	v_fma_f64 v[90:91], v[72:73], s[12:13], v[80:81]
	v_add_f64 v[70:71], v[74:75], -v[78:79]
	v_fma_f64 v[72:73], v[72:73], s[16:17], v[80:81]
	v_fma_f64 v[82:83], v[82:83], -0.5, v[40:41]
	v_add_f64 v[92:93], v[46:47], -v[62:63]
	v_add_f64 v[74:75], v[84:85], v[48:49]
	v_add_f64 v[80:81], v[44:45], -v[48:49]
	v_add_f64 v[94:95], v[60:61], -v[52:53]
	v_fma_f64 v[90:91], v[64:65], s[18:19], v[90:91]
	v_add_f64 v[136:137], v[44:45], v[60:61]
	v_add_f64 v[66:67], v[66:67], v[70:71]
	v_fma_f64 v[64:65], v[64:65], s[14:15], v[72:73]
	v_fma_f64 v[78:79], v[92:93], s[12:13], v[82:83]
	v_add_f64 v[84:85], v[50:51], -v[54:55]
	v_add_f64 v[70:71], v[74:75], v[52:53]
	v_add_f64 v[94:95], v[80:81], v[94:95]
	v_fma_f64 v[72:73], v[86:87], s[4:5], v[4:5]
	v_fma_f64 v[40:41], v[136:137], -0.5, v[40:41]
	v_fma_f64 v[74:75], v[66:67], s[4:5], v[90:91]
	v_fma_f64 v[80:81], v[66:67], s[4:5], v[64:65]
	v_add_f64 v[64:65], v[46:47], v[62:63]
	v_fma_f64 v[66:67], v[92:93], s[16:17], v[82:83]
	v_add_f64 v[82:83], v[50:51], v[54:55]
	v_fma_f64 v[4:5], v[84:85], s[14:15], v[78:79]
	v_fma_f64 v[78:79], v[86:87], s[4:5], v[88:89]
	;; [unrolled: 1-line block ×3, first 2 shown]
	v_add_f64 v[88:89], v[48:49], -v[44:45]
	v_add_f64 v[90:91], v[52:53], -v[60:61]
	;; [unrolled: 1-line block ×3, first 2 shown]
	v_fma_f64 v[52:53], v[64:65], -0.5, v[42:43]
	v_fma_f64 v[64:65], v[84:85], s[18:19], v[66:67]
	v_add_f64 v[66:67], v[42:43], v[46:47]
	v_fma_f64 v[42:43], v[82:83], -0.5, v[42:43]
	v_add_f64 v[44:45], v[44:45], -v[60:61]
	v_add_f64 v[70:71], v[70:71], v[60:61]
	v_fma_f64 v[60:61], v[92:93], s[14:15], v[86:87]
	v_add_f64 v[82:83], v[88:89], v[90:91]
	v_fma_f64 v[40:41], v[84:85], s[12:13], v[40:41]
	v_fma_f64 v[84:85], v[48:49], s[12:13], v[52:53]
	v_add_f64 v[86:87], v[50:51], -v[46:47]
	v_add_f64 v[88:89], v[54:55], -v[62:63]
	v_add_f64 v[66:67], v[66:67], v[50:51]
	v_fma_f64 v[90:91], v[44:45], s[16:17], v[42:43]
	v_add_f64 v[46:47], v[46:47], -v[50:51]
	v_add_f64 v[50:51], v[62:63], -v[54:55]
	v_fma_f64 v[52:53], v[48:49], s[16:17], v[52:53]
	v_fma_f64 v[42:43], v[44:45], s[12:13], v[42:43]
	v_fma_f64 v[84:85], v[44:45], s[18:19], v[84:85]
	v_add_f64 v[86:87], v[86:87], v[88:89]
	v_fma_f64 v[40:41], v[92:93], s[18:19], v[40:41]
	v_fma_f64 v[4:5], v[94:95], s[4:5], v[4:5]
	v_add_f64 v[54:55], v[66:67], v[54:55]
	v_add_f64 v[46:47], v[46:47], v[50:51]
	v_fma_f64 v[44:45], v[44:45], s[14:15], v[52:53]
	v_fma_f64 v[42:43], v[48:49], s[14:15], v[42:43]
	;; [unrolled: 1-line block ×7, first 2 shown]
	v_add_f64 v[60:61], v[54:55], v[62:63]
	v_fma_f64 v[44:45], v[86:87], s[4:5], v[44:45]
	v_fma_f64 v[42:43], v[46:47], s[4:5], v[42:43]
	;; [unrolled: 1-line block ×3, first 2 shown]
	v_mul_f64 v[46:47], v[4:5], s[22:23]
	v_mul_f64 v[64:65], v[50:51], s[12:13]
	;; [unrolled: 1-line block ×8, first 2 shown]
	v_fma_f64 v[62:63], v[54:55], s[14:15], v[46:47]
	v_fma_f64 v[82:83], v[52:53], s[4:5], v[64:65]
	v_fma_f64 v[84:85], v[44:45], s[12:13], -v[66:67]
	v_fma_f64 v[86:87], v[42:43], s[14:15], -v[86:87]
	v_fma_f64 v[88:89], v[54:55], s[22:23], v[4:5]
	v_fma_f64 v[90:91], v[50:51], s[4:5], v[90:91]
	v_fma_f64 v[92:93], v[40:41], s[16:17], -v[92:93]
	v_fma_f64 v[94:95], v[48:49], s[18:19], -v[94:95]
	v_add_f64 v[40:41], v[2:3], -v[70:71]
	v_add_f64 v[44:45], v[56:57], -v[62:63]
	;; [unrolled: 1-line block ×10, first 2 shown]
	v_mul_lo_u16_e32 v4, 10, v250
	v_lshl_add_u32 v4, v4, 4, v28
	v_mul_u32_u24_e32 v5, 10, v6
	s_barrier
	ds_write_b128 v4, v[96:99]
	ds_write_b128 v4, v[100:103] offset:16
	ds_write_b128 v4, v[104:107] offset:32
	;; [unrolled: 1-line block ×9, first 2 shown]
	buffer_store_dword v5, off, s[28:31], 0 offset:144 ; 4-byte Folded Spill
	s_and_saveexec_b64 s[22:23], s[0:1]
	s_cbranch_execz .LBB0_7
; %bb.6:
	v_add_f64 v[60:61], v[58:59], v[60:61]
	v_add_f64 v[58:59], v[2:3], v[70:71]
	;; [unrolled: 1-line block ×10, first 2 shown]
	v_mul_u32_u24_e32 v0, 10, v6
	v_lshl_add_u32 v0, v0, 4, v28
	ds_write_b128 v0, v[58:61]
	ds_write_b128 v0, v[94:97] offset:16
	ds_write_b128 v0, v[72:75] offset:32
	;; [unrolled: 1-line block ×9, first 2 shown]
.LBB0_7:
	s_or_b64 exec, exec, s[22:23]
	v_add_co_u32_e32 v176, vcc, 0x5a, v250
	v_lshlrev_b32_e32 v0, 4, v250
	v_add_co_u32_e32 v0, vcc, s20, v0
	v_mov_b32_e32 v1, s21
	s_movk_i32 s20, 0x78
	v_addc_co_u32_e32 v1, vcc, 0, v1, vcc
	v_add_co_u32_e32 v180, vcc, s20, v250
	s_movk_i32 s20, 0xcd
	v_mul_lo_u16_sdwa v2, v250, s20 dst_sel:DWORD dst_unused:UNUSED_PAD src0_sel:BYTE_0 src1_sel:DWORD
	v_lshrrev_b16_e32 v2, 11, v2
	v_mul_lo_u16_e32 v3, 10, v2
	v_sub_u16_e32 v3, v250, v3
	v_lshlrev_b16_e32 v5, 2, v3
	v_and_b32_e32 v5, 0xfc, v5
	v_lshlrev_b32_e32 v5, 4, v5
	s_waitcnt vmcnt(0) lgkmcnt(0)
	s_barrier
	ds_read_b128 v[116:119], v255
	ds_read_b128 v[76:79], v255 offset:1440
	ds_read_b128 v[80:83], v255 offset:2880
	;; [unrolled: 1-line block ×14, first 2 shown]
	global_load_dwordx4 v[56:59], v5, s[2:3] offset:48
	global_load_dwordx4 v[60:63], v5, s[2:3] offset:32
	;; [unrolled: 1-line block ×3, first 2 shown]
	global_load_dwordx4 v[72:75], v5, s[2:3]
	v_mul_lo_u16_sdwa v5, v6, s20 dst_sel:DWORD dst_unused:UNUSED_PAD src0_sel:BYTE_0 src1_sel:DWORD
	v_lshrrev_b16_e32 v5, 11, v5
	v_mul_lo_u16_e32 v8, 10, v5
	v_sub_u16_e32 v178, v6, v8
	v_mov_b32_e32 v8, 6
	v_lshlrev_b32_sdwa v9, v8, v178 dst_sel:DWORD dst_unused:UNUSED_PAD src0_sel:DWORD src1_sel:BYTE_0
	v_add_co_u32_e32 v177, vcc, 60, v250
	v_mad_legacy_u16 v2, v2, 50, v3
	v_mul_u32_u24_e32 v3, 50, v5
	v_and_b32_e32 v2, 0xff, v2
	v_add_u32_sdwa v3, v3, v178 dst_sel:DWORD dst_unused:UNUSED_PAD src0_sel:DWORD src1_sel:BYTE_0
	v_lshl_add_u32 v2, v2, 4, v28
	v_lshl_add_u32 v3, v3, 4, v28
	v_lshlrev_b32_e32 v14, 5, v180
	s_waitcnt vmcnt(0) lgkmcnt(13)
	v_mul_f64 v[132:133], v[78:79], v[74:75]
	v_fma_f64 v[144:145], v[76:77], v[72:73], -v[132:133]
	v_mul_f64 v[76:77], v[76:77], v[74:75]
	v_fma_f64 v[134:135], v[78:79], v[72:73], v[76:77]
	s_waitcnt lgkmcnt(12)
	v_mul_f64 v[76:77], v[82:83], v[70:71]
	v_fma_f64 v[186:187], v[80:81], v[68:69], -v[76:77]
	v_mul_f64 v[76:77], v[80:81], v[70:71]
	v_fma_f64 v[136:137], v[82:83], v[68:69], v[76:77]
	s_waitcnt lgkmcnt(11)
	;; [unrolled: 5-line block ×3, first 2 shown]
	v_mul_f64 v[76:77], v[90:91], v[58:59]
	v_fma_f64 v[190:191], v[88:89], v[56:57], -v[76:77]
	v_mul_f64 v[76:77], v[88:89], v[58:59]
	v_fma_f64 v[140:141], v[90:91], v[56:57], v[76:77]
	global_load_dwordx4 v[76:79], v9, s[2:3] offset:48
	global_load_dwordx4 v[80:83], v9, s[2:3] offset:32
	;; [unrolled: 1-line block ×3, first 2 shown]
	global_load_dwordx4 v[88:91], v9, s[2:3]
	v_mul_lo_u16_sdwa v9, v177, s20 dst_sel:DWORD dst_unused:UNUSED_PAD src0_sel:BYTE_0 src1_sel:DWORD
	v_lshrrev_b16_e32 v179, 11, v9
	v_mul_lo_u16_e32 v9, 10, v179
	v_sub_u16_e32 v181, v177, v9
	v_lshlrev_b32_sdwa v8, v8, v181 dst_sel:DWORD dst_unused:UNUSED_PAD src0_sel:DWORD src1_sel:BYTE_0
	v_mul_u32_u24_e32 v5, 50, v179
	v_add_u32_sdwa v5, v5, v181 dst_sel:DWORD dst_unused:UNUSED_PAD src0_sel:DWORD src1_sel:BYTE_0
	v_lshl_add_u32 v5, v5, 4, v28
	s_waitcnt vmcnt(0) lgkmcnt(8)
	v_mul_f64 v[132:133], v[94:95], v[90:91]
	v_fma_f64 v[142:143], v[92:93], v[88:89], -v[132:133]
	v_mul_f64 v[92:93], v[92:93], v[90:91]
	v_fma_f64 v[154:155], v[94:95], v[88:89], v[92:93]
	s_waitcnt lgkmcnt(7)
	v_mul_f64 v[92:93], v[98:99], v[86:87]
	v_fma_f64 v[146:147], v[96:97], v[84:85], -v[92:93]
	v_mul_f64 v[92:93], v[96:97], v[86:87]
	v_fma_f64 v[158:159], v[98:99], v[84:85], v[92:93]
	s_waitcnt lgkmcnt(6)
	;; [unrolled: 5-line block ×3, first 2 shown]
	v_mul_f64 v[92:93], v[106:107], v[78:79]
	v_fma_f64 v[174:175], v[104:105], v[76:77], -v[92:93]
	v_mul_f64 v[92:93], v[104:105], v[78:79]
	v_fma_f64 v[164:165], v[106:107], v[76:77], v[92:93]
	global_load_dwordx4 v[92:95], v8, s[2:3] offset:48
	global_load_dwordx4 v[96:99], v8, s[2:3] offset:32
	;; [unrolled: 1-line block ×3, first 2 shown]
	global_load_dwordx4 v[104:107], v8, s[2:3]
	s_waitcnt vmcnt(0) lgkmcnt(0)
	s_barrier
	v_mul_f64 v[132:133], v[122:123], v[106:107]
	v_fma_f64 v[156:157], v[120:121], v[104:105], -v[132:133]
	v_mul_f64 v[120:121], v[120:121], v[106:107]
	v_add_f64 v[132:133], v[190:191], -v[188:189]
	v_fma_f64 v[148:149], v[122:123], v[104:105], v[120:121]
	v_mul_f64 v[120:121], v[126:127], v[102:103]
	v_add_f64 v[122:123], v[186:187], v[188:189]
	v_fma_f64 v[162:163], v[124:125], v[100:101], -v[120:121]
	v_mul_f64 v[120:121], v[124:125], v[102:103]
	v_fma_f64 v[122:123], v[122:123], -0.5, v[116:117]
	v_fma_f64 v[150:151], v[126:127], v[100:101], v[120:121]
	v_mul_f64 v[120:121], v[130:131], v[98:99]
	v_add_f64 v[126:127], v[134:135], -v[140:141]
	v_fma_f64 v[168:169], v[128:129], v[96:97], -v[120:121]
	v_mul_f64 v[120:121], v[128:129], v[98:99]
	v_fma_f64 v[124:125], v[126:127], s[12:13], v[122:123]
	v_add_f64 v[128:129], v[144:145], -v[186:187]
	v_fma_f64 v[122:123], v[126:127], s[16:17], v[122:123]
	v_fma_f64 v[152:153], v[130:131], v[96:97], v[120:121]
	v_add_f64 v[130:131], v[136:137], -v[138:139]
	v_mul_f64 v[120:121], v[184:185], v[94:95]
	v_add_f64 v[132:133], v[128:129], v[132:133]
	v_fma_f64 v[124:125], v[130:131], s[14:15], v[124:125]
	v_fma_f64 v[122:123], v[130:131], s[18:19], v[122:123]
	v_fma_f64 v[170:171], v[182:183], v[92:93], -v[120:121]
	v_mul_f64 v[120:121], v[182:183], v[94:95]
	v_add_f64 v[182:183], v[188:189], -v[190:191]
	v_fma_f64 v[128:129], v[132:133], s[4:5], v[124:125]
	v_fma_f64 v[124:125], v[132:133], s[4:5], v[122:123]
	v_add_f64 v[122:123], v[144:145], v[190:191]
	v_fma_f64 v[166:167], v[184:185], v[92:93], v[120:121]
	v_add_f64 v[120:121], v[116:117], v[144:145]
	v_add_f64 v[132:133], v[186:187], -v[144:145]
	v_add_f64 v[144:145], v[144:145], -v[190:191]
	;; [unrolled: 1-line block ×3, first 2 shown]
	v_fma_f64 v[116:117], v[122:123], -0.5, v[116:117]
	v_add_f64 v[120:121], v[120:121], v[186:187]
	v_add_f64 v[182:183], v[132:133], v[182:183]
	v_fma_f64 v[122:123], v[130:131], s[16:17], v[116:117]
	v_fma_f64 v[116:117], v[130:131], s[12:13], v[116:117]
	v_add_f64 v[120:121], v[120:121], v[188:189]
	v_fma_f64 v[122:123], v[126:127], s[14:15], v[122:123]
	v_fma_f64 v[116:117], v[126:127], s[18:19], v[116:117]
	v_add_f64 v[126:127], v[136:137], v[138:139]
	v_add_f64 v[120:121], v[120:121], v[190:191]
	v_fma_f64 v[132:133], v[182:183], s[4:5], v[122:123]
	v_fma_f64 v[116:117], v[182:183], s[4:5], v[116:117]
	v_fma_f64 v[126:127], v[126:127], -0.5, v[118:119]
	v_add_f64 v[182:183], v[186:187], -v[188:189]
	v_add_f64 v[186:187], v[140:141], -v[138:139]
	v_add_f64 v[122:123], v[118:119], v[134:135]
	v_add_f64 v[188:189], v[172:173], -v[174:175]
	v_fma_f64 v[130:131], v[144:145], s[16:17], v[126:127]
	v_fma_f64 v[126:127], v[144:145], s[12:13], v[126:127]
	v_add_f64 v[184:185], v[184:185], v[186:187]
	v_add_f64 v[122:123], v[122:123], v[136:137]
	v_add_f64 v[186:187], v[174:175], -v[172:173]
	v_fma_f64 v[130:131], v[182:183], s[18:19], v[130:131]
	v_fma_f64 v[126:127], v[182:183], s[14:15], v[126:127]
	v_add_f64 v[122:123], v[122:123], v[138:139]
	v_fma_f64 v[130:131], v[184:185], s[4:5], v[130:131]
	v_fma_f64 v[126:127], v[184:185], s[4:5], v[126:127]
	v_add_f64 v[184:185], v[134:135], v[140:141]
	v_add_f64 v[134:135], v[136:137], -v[134:135]
	v_add_f64 v[136:137], v[138:139], -v[140:141]
	v_add_f64 v[138:139], v[146:147], v[172:173]
	v_add_f64 v[122:123], v[122:123], v[140:141]
	v_fma_f64 v[118:119], v[184:185], -0.5, v[118:119]
	v_add_f64 v[136:137], v[134:135], v[136:137]
	v_fma_f64 v[138:139], v[138:139], -0.5, v[112:113]
	v_fma_f64 v[184:185], v[182:183], s[12:13], v[118:119]
	v_fma_f64 v[118:119], v[182:183], s[16:17], v[118:119]
	v_add_f64 v[182:183], v[154:155], -v[164:165]
	v_fma_f64 v[184:185], v[144:145], s[18:19], v[184:185]
	v_fma_f64 v[118:119], v[144:145], s[14:15], v[118:119]
	;; [unrolled: 1-line block ×3, first 2 shown]
	v_add_f64 v[144:145], v[142:143], -v[146:147]
	v_fma_f64 v[138:139], v[182:183], s[16:17], v[138:139]
	v_fma_f64 v[134:135], v[136:137], s[4:5], v[184:185]
	v_add_f64 v[184:185], v[158:159], -v[160:161]
	v_fma_f64 v[118:119], v[136:137], s[4:5], v[118:119]
	v_add_f64 v[186:187], v[144:145], v[186:187]
	v_add_f64 v[136:137], v[112:113], v[142:143]
	ds_write_b128 v2, v[120:123]
	ds_write_b128 v2, v[128:131] offset:160
	ds_write_b128 v2, v[132:135] offset:320
	;; [unrolled: 1-line block ×4, first 2 shown]
	v_fma_f64 v[140:141], v[184:185], s[14:15], v[140:141]
	v_fma_f64 v[138:139], v[184:185], s[18:19], v[138:139]
	v_add_f64 v[136:137], v[136:137], v[146:147]
	v_fma_f64 v[144:145], v[186:187], s[4:5], v[140:141]
	v_fma_f64 v[140:141], v[186:187], s[4:5], v[138:139]
	v_add_f64 v[138:139], v[142:143], v[174:175]
	v_add_f64 v[136:137], v[136:137], v[172:173]
	v_add_f64 v[186:187], v[146:147], -v[142:143]
	v_add_f64 v[172:173], v[146:147], -v[172:173]
	v_add_f64 v[146:147], v[154:155], -v[158:159]
	v_fma_f64 v[138:139], v[138:139], -0.5, v[112:113]
	v_add_f64 v[136:137], v[136:137], v[174:175]
	v_add_f64 v[186:187], v[186:187], v[188:189]
	v_add_f64 v[174:175], v[142:143], -v[174:175]
	v_add_f64 v[188:189], v[168:169], -v[170:171]
	v_fma_f64 v[112:113], v[184:185], s[16:17], v[138:139]
	v_fma_f64 v[138:139], v[184:185], s[12:13], v[138:139]
	v_add_f64 v[184:185], v[158:159], v[160:161]
	v_fma_f64 v[112:113], v[182:183], s[14:15], v[112:113]
	v_fma_f64 v[138:139], v[182:183], s[18:19], v[138:139]
	v_fma_f64 v[184:185], v[184:185], -0.5, v[114:115]
	v_fma_f64 v[112:113], v[186:187], s[4:5], v[112:113]
	v_fma_f64 v[182:183], v[186:187], s[4:5], v[138:139]
	v_fma_f64 v[142:143], v[174:175], s[16:17], v[184:185]
	v_add_f64 v[186:187], v[164:165], -v[160:161]
	v_add_f64 v[138:139], v[114:115], v[154:155]
	v_fma_f64 v[142:143], v[172:173], s[18:19], v[142:143]
	v_add_f64 v[186:187], v[146:147], v[186:187]
	v_add_f64 v[138:139], v[138:139], v[158:159]
	v_fma_f64 v[146:147], v[186:187], s[4:5], v[142:143]
	v_fma_f64 v[142:143], v[174:175], s[12:13], v[184:185]
	v_add_f64 v[184:185], v[154:155], v[164:165]
	v_add_f64 v[154:155], v[158:159], -v[154:155]
	v_add_f64 v[158:159], v[160:161], -v[164:165]
	v_add_f64 v[138:139], v[138:139], v[160:161]
	v_fma_f64 v[142:143], v[172:173], s[14:15], v[142:143]
	v_fma_f64 v[184:185], v[184:185], -0.5, v[114:115]
	v_add_f64 v[154:155], v[154:155], v[158:159]
	v_add_f64 v[138:139], v[138:139], v[164:165]
	v_add_f64 v[164:165], v[148:149], -v[166:167]
	v_fma_f64 v[142:143], v[186:187], s[4:5], v[142:143]
	v_fma_f64 v[114:115], v[172:173], s[12:13], v[184:185]
	;; [unrolled: 1-line block ×3, first 2 shown]
	v_add_f64 v[172:173], v[156:157], -v[162:163]
	v_add_f64 v[186:187], v[170:171], -v[168:169]
	v_fma_f64 v[114:115], v[174:175], s[18:19], v[114:115]
	v_fma_f64 v[158:159], v[174:175], s[14:15], v[158:159]
	v_add_f64 v[174:175], v[150:151], -v[152:153]
	v_add_f64 v[172:173], v[172:173], v[186:187]
	v_add_f64 v[186:187], v[162:163], -v[156:157]
	v_fma_f64 v[114:115], v[154:155], s[4:5], v[114:115]
	v_fma_f64 v[184:185], v[154:155], s[4:5], v[158:159]
	v_add_f64 v[154:155], v[108:109], v[156:157]
	ds_write_b128 v3, v[136:139]
	ds_write_b128 v3, v[144:147] offset:160
	ds_write_b128 v3, v[112:115] offset:320
	;; [unrolled: 1-line block ×4, first 2 shown]
	v_add_f64 v[186:187], v[186:187], v[188:189]
	v_add_f64 v[154:155], v[154:155], v[162:163]
	;; [unrolled: 1-line block ×5, first 2 shown]
	v_add_f64 v[162:163], v[162:163], -v[168:169]
	v_add_f64 v[168:169], v[148:149], -v[150:151]
	v_fma_f64 v[160:161], v[154:155], -0.5, v[108:109]
	v_fma_f64 v[154:155], v[164:165], s[12:13], v[160:161]
	v_fma_f64 v[160:161], v[164:165], s[16:17], v[160:161]
	;; [unrolled: 1-line block ×6, first 2 shown]
	v_add_f64 v[160:161], v[156:157], v[170:171]
	v_add_f64 v[170:171], v[156:157], -v[170:171]
	v_fma_f64 v[160:161], v[160:161], -0.5, v[108:109]
	v_fma_f64 v[108:109], v[174:175], s[16:17], v[160:161]
	v_fma_f64 v[160:161], v[174:175], s[12:13], v[160:161]
	v_add_f64 v[174:175], v[150:151], v[152:153]
	v_fma_f64 v[108:109], v[164:165], s[14:15], v[108:109]
	v_fma_f64 v[160:161], v[164:165], s[18:19], v[160:161]
	v_fma_f64 v[174:175], v[174:175], -0.5, v[110:111]
	v_fma_f64 v[108:109], v[186:187], s[4:5], v[108:109]
	v_fma_f64 v[164:165], v[186:187], s[4:5], v[160:161]
	;; [unrolled: 1-line block ×3, first 2 shown]
	v_add_f64 v[186:187], v[166:167], -v[152:153]
	v_fma_f64 v[174:175], v[170:171], s[12:13], v[174:175]
	v_add_f64 v[160:161], v[110:111], v[148:149]
	v_fma_f64 v[156:157], v[162:163], s[18:19], v[156:157]
	v_add_f64 v[168:169], v[168:169], v[186:187]
	;; [unrolled: 2-line block ×3, first 2 shown]
	v_fma_f64 v[156:157], v[168:169], s[4:5], v[156:157]
	v_fma_f64 v[174:175], v[168:169], s[4:5], v[174:175]
	v_add_f64 v[168:169], v[148:149], v[166:167]
	v_add_f64 v[148:149], v[150:151], -v[148:149]
	v_add_f64 v[150:151], v[152:153], -v[166:167]
	v_add_f64 v[160:161], v[160:161], v[152:153]
	v_fma_f64 v[168:169], v[168:169], -0.5, v[110:111]
	v_add_f64 v[148:149], v[148:149], v[150:151]
	v_add_f64 v[160:161], v[160:161], v[166:167]
	v_fma_f64 v[110:111], v[162:163], s[12:13], v[168:169]
	v_fma_f64 v[150:151], v[162:163], s[16:17], v[168:169]
	s_mov_b32 s13, 0xbfebb67a
	v_fma_f64 v[110:111], v[170:171], s[18:19], v[110:111]
	v_fma_f64 v[150:151], v[170:171], s[14:15], v[150:151]
	v_lshlrev_b32_e32 v170, 5, v250
	v_fma_f64 v[110:111], v[148:149], s[4:5], v[110:111]
	v_fma_f64 v[166:167], v[148:149], s[4:5], v[150:151]
	ds_write_b128 v5, v[158:161]
	ds_write_b128 v5, v[154:157] offset:160
	ds_write_b128 v5, v[108:111] offset:320
	ds_write_b128 v5, v[164:167] offset:480
	ds_write_b128 v5, v[172:175] offset:640
	s_waitcnt lgkmcnt(0)
	s_barrier
	ds_read_b128 v[164:167], v255
	ds_read_b128 v[116:119], v255 offset:2400
	ds_read_b128 v[120:123], v255 offset:4800
	;; [unrolled: 1-line block ×14, first 2 shown]
	global_load_dwordx4 v[108:111], v170, s[2:3] offset:656
	global_load_dwordx4 v[112:115], v170, s[2:3] offset:640
	s_movk_i32 s4, 0xffec
	v_add_co_u32_e32 v8, vcc, s4, v250
	v_addc_co_u32_e64 v9, s[4:5], 0, -1, vcc
	v_cmp_gt_u16_e32 vcc, 20, v250
	s_mov_b32 s4, 0xe8584caa
	s_mov_b32 s5, 0x3febb67a
	s_mov_b32 s12, s4
	s_waitcnt vmcnt(0) lgkmcnt(13)
	v_mul_f64 v[168:169], v[118:119], v[114:115]
	v_fma_f64 v[178:179], v[116:117], v[112:113], -v[168:169]
	v_mul_f64 v[116:117], v[116:117], v[114:115]
	v_cndmask_b32_e32 v169, v9, v7, vcc
	v_cndmask_b32_e32 v168, v8, v6, vcc
	v_mov_b32_e32 v7, s3
	v_mov_b32_e32 v8, 41
	v_lshlrev_b32_e32 v6, 5, v6
	v_fma_f64 v[185:186], v[118:119], v[112:113], v[116:117]
	s_waitcnt lgkmcnt(12)
	v_mul_f64 v[116:117], v[122:123], v[110:111]
	v_fma_f64 v[187:188], v[120:121], v[108:109], -v[116:117]
	v_mul_f64 v[116:117], v[120:121], v[110:111]
	v_fma_f64 v[189:190], v[122:123], v[108:109], v[116:117]
	v_lshlrev_b64 v[116:117], 5, v[168:169]
	v_add_co_u32_e32 v120, vcc, s2, v116
	v_addc_co_u32_e32 v121, vcc, v7, v117, vcc
	global_load_dwordx4 v[116:119], v[120:121], off offset:656
	s_nop 0
	global_load_dwordx4 v[120:123], v[120:121], off offset:640
	v_mul_lo_u16_sdwa v7, v176, v8 dst_sel:DWORD dst_unused:UNUSED_PAD src0_sel:BYTE_0 src1_sel:DWORD
	v_lshrrev_b16_e32 v7, 11, v7
	v_mul_lo_u16_e32 v9, 50, v7
	v_sub_u16_e32 v169, v176, v9
	v_mov_b32_e32 v9, 5
	v_lshlrev_b32_sdwa v9, v9, v169 dst_sel:DWORD dst_unused:UNUSED_PAD src0_sel:DWORD src1_sel:BYTE_0
	v_mul_lo_u16_sdwa v8, v180, v8 dst_sel:DWORD dst_unused:UNUSED_PAD src0_sel:BYTE_0 src1_sel:DWORD
	v_lshrrev_b16_e32 v8, 11, v8
	v_mul_lo_u16_e32 v8, 50, v8
	v_sub_u16_e32 v8, v180, v8
	v_and_b32_e32 v171, 0xff, v8
	v_lshlrev_b32_e32 v8, 5, v171
	v_cmp_lt_u16_e32 vcc, 19, v250
	v_mul_u32_u24_e32 v7, 0x96, v7
	v_add_u32_sdwa v7, v7, v169 dst_sel:DWORD dst_unused:UNUSED_PAD src0_sel:DWORD src1_sel:BYTE_0
	v_lshl_add_u32 v7, v7, 4, v28
	s_waitcnt vmcnt(0) lgkmcnt(10)
	v_mul_f64 v[191:192], v[126:127], v[122:123]
	v_fma_f64 v[191:192], v[124:125], v[120:121], -v[191:192]
	v_mul_f64 v[124:125], v[124:125], v[122:123]
	v_fma_f64 v[193:194], v[126:127], v[120:121], v[124:125]
	s_waitcnt lgkmcnt(9)
	v_mul_f64 v[124:125], v[130:131], v[118:119]
	v_fma_f64 v[195:196], v[128:129], v[116:117], -v[124:125]
	v_mul_f64 v[124:125], v[128:129], v[118:119]
	v_fma_f64 v[197:198], v[130:131], v[116:117], v[124:125]
	global_load_dwordx4 v[124:127], v170, s[2:3] offset:976
	global_load_dwordx4 v[128:131], v170, s[2:3] offset:960
	s_waitcnt vmcnt(0) lgkmcnt(7)
	v_mul_f64 v[199:200], v[134:135], v[130:131]
	v_fma_f64 v[199:200], v[132:133], v[128:129], -v[199:200]
	v_mul_f64 v[132:133], v[132:133], v[130:131]
	v_fma_f64 v[201:202], v[134:135], v[128:129], v[132:133]
	s_waitcnt lgkmcnt(6)
	v_mul_f64 v[132:133], v[138:139], v[126:127]
	v_fma_f64 v[203:204], v[136:137], v[124:125], -v[132:133]
	v_mul_f64 v[132:133], v[136:137], v[126:127]
	v_fma_f64 v[205:206], v[138:139], v[124:125], v[132:133]
	global_load_dwordx4 v[132:135], v9, s[2:3] offset:656
	global_load_dwordx4 v[136:139], v9, s[2:3] offset:640
	;; [unrolled: 12-line block ×3, first 2 shown]
	v_mov_b32_e32 v8, 0x96
	v_cndmask_b32_e32 v8, 0, v8, vcc
	v_add_u32_e32 v8, v168, v8
	v_lshl_add_u32 v8, v8, 4, v28
	s_waitcnt vmcnt(0) lgkmcnt(0)
	s_barrier
	v_mul_f64 v[215:216], v[174:175], v[146:147]
	v_fma_f64 v[215:216], v[172:173], v[144:145], -v[215:216]
	v_mul_f64 v[172:173], v[172:173], v[146:147]
	v_fma_f64 v[217:218], v[174:175], v[144:145], v[172:173]
	v_mul_f64 v[172:173], v[183:184], v[142:143]
	v_add_f64 v[174:175], v[178:179], v[187:188]
	v_fma_f64 v[219:220], v[181:182], v[140:141], -v[172:173]
	v_mul_f64 v[172:173], v[181:182], v[142:143]
	v_fma_f64 v[174:175], v[174:175], -0.5, v[164:165]
	v_add_f64 v[181:182], v[185:186], -v[189:190]
	v_fma_f64 v[221:222], v[183:184], v[140:141], v[172:173]
	v_add_f64 v[183:184], v[185:186], v[189:190]
	v_add_f64 v[172:173], v[164:165], v[178:179]
	v_add_f64 v[178:179], v[178:179], -v[187:188]
	v_fma_f64 v[164:165], v[181:182], s[4:5], v[174:175]
	v_fma_f64 v[181:182], v[181:182], s[12:13], v[174:175]
	v_add_f64 v[174:175], v[166:167], v[185:186]
	v_fma_f64 v[183:184], v[183:184], -0.5, v[166:167]
	v_add_f64 v[172:173], v[172:173], v[187:188]
	v_add_f64 v[187:188], v[193:194], -v[197:198]
	v_add_f64 v[174:175], v[174:175], v[189:190]
	v_fma_f64 v[166:167], v[178:179], s[12:13], v[183:184]
	v_fma_f64 v[183:184], v[178:179], s[4:5], v[183:184]
	v_add_f64 v[178:179], v[160:161], v[191:192]
	ds_write_b128 v255, v[172:175]
	ds_write_b128 v255, v[164:167] offset:800
	ds_write_b128 v255, v[181:184] offset:1600
	v_add_f64 v[185:186], v[178:179], v[195:196]
	v_add_f64 v[178:179], v[191:192], v[195:196]
	v_add_f64 v[191:192], v[191:192], -v[195:196]
	v_add_f64 v[195:196], v[201:202], -v[205:206]
	v_fma_f64 v[178:179], v[178:179], -0.5, v[160:161]
	v_fma_f64 v[160:161], v[187:188], s[4:5], v[178:179]
	v_fma_f64 v[189:190], v[187:188], s[12:13], v[178:179]
	v_add_f64 v[178:179], v[162:163], v[193:194]
	v_add_f64 v[187:188], v[178:179], v[197:198]
	;; [unrolled: 1-line block ×3, first 2 shown]
	v_fma_f64 v[178:179], v[178:179], -0.5, v[162:163]
	v_fma_f64 v[162:163], v[191:192], s[12:13], v[178:179]
	v_fma_f64 v[191:192], v[191:192], s[4:5], v[178:179]
	v_add_f64 v[178:179], v[156:157], v[199:200]
	ds_write_b128 v8, v[185:188]
	ds_write_b128 v8, v[160:163] offset:800
	buffer_store_dword v8, off, s[28:31], 0 offset:128 ; 4-byte Folded Spill
	v_add_f64 v[193:194], v[178:179], v[203:204]
	v_add_f64 v[178:179], v[199:200], v[203:204]
	v_add_f64 v[199:200], v[199:200], -v[203:204]
	v_add_f64 v[203:204], v[209:210], -v[213:214]
	v_fma_f64 v[178:179], v[178:179], -0.5, v[156:157]
	v_fma_f64 v[156:157], v[195:196], s[4:5], v[178:179]
	v_fma_f64 v[197:198], v[195:196], s[12:13], v[178:179]
	v_add_f64 v[178:179], v[158:159], v[201:202]
	v_add_f64 v[195:196], v[178:179], v[205:206]
	v_add_f64 v[178:179], v[201:202], v[205:206]
	v_fma_f64 v[178:179], v[178:179], -0.5, v[158:159]
	v_fma_f64 v[158:159], v[199:200], s[12:13], v[178:179]
	v_fma_f64 v[199:200], v[199:200], s[4:5], v[178:179]
	v_add_f64 v[178:179], v[152:153], v[207:208]
	ds_write_b128 v8, v[189:192] offset:1600
	ds_write_b128 v255, v[193:196] offset:2560
	;; [unrolled: 1-line block ×4, first 2 shown]
	v_add_f64 v[201:202], v[178:179], v[211:212]
	v_add_f64 v[178:179], v[207:208], v[211:212]
	v_add_f64 v[207:208], v[207:208], -v[211:212]
	v_add_f64 v[211:212], v[217:218], -v[221:222]
	v_fma_f64 v[178:179], v[178:179], -0.5, v[152:153]
	v_fma_f64 v[152:153], v[203:204], s[4:5], v[178:179]
	v_fma_f64 v[205:206], v[203:204], s[12:13], v[178:179]
	v_add_f64 v[178:179], v[154:155], v[209:210]
	v_add_f64 v[203:204], v[178:179], v[213:214]
	;; [unrolled: 1-line block ×3, first 2 shown]
	v_fma_f64 v[178:179], v[178:179], -0.5, v[154:155]
	v_fma_f64 v[154:155], v[207:208], s[12:13], v[178:179]
	v_fma_f64 v[207:208], v[207:208], s[4:5], v[178:179]
	v_add_f64 v[178:179], v[148:149], v[215:216]
	ds_write_b128 v7, v[201:204]
	ds_write_b128 v7, v[152:155] offset:800
	buffer_store_dword v7, off, s[28:31], 0 offset:132 ; 4-byte Folded Spill
	ds_write_b128 v7, v[205:208] offset:1600
	v_add_f64 v[209:210], v[178:179], v[219:220]
	v_add_f64 v[178:179], v[215:216], v[219:220]
	v_add_f64 v[215:216], v[215:216], -v[219:220]
	v_lshl_add_u32 v7, v171, 4, v28
	v_fma_f64 v[178:179], v[178:179], -0.5, v[148:149]
	v_fma_f64 v[148:149], v[211:212], s[4:5], v[178:179]
	v_fma_f64 v[213:214], v[211:212], s[12:13], v[178:179]
	v_add_f64 v[178:179], v[150:151], v[217:218]
	v_add_f64 v[211:212], v[178:179], v[221:222]
	;; [unrolled: 1-line block ×3, first 2 shown]
	v_fma_f64 v[178:179], v[178:179], -0.5, v[150:151]
	v_fma_f64 v[150:151], v[215:216], s[12:13], v[178:179]
	v_fma_f64 v[215:216], v[215:216], s[4:5], v[178:179]
	ds_write_b128 v7, v[209:212] offset:4800
	ds_write_b128 v7, v[148:151] offset:5600
	buffer_store_dword v7, off, s[28:31], 0 offset:136 ; 4-byte Folded Spill
	ds_write_b128 v7, v[213:216] offset:6400
	s_waitcnt vmcnt(0) lgkmcnt(0)
	s_barrier
	ds_read_b128 v[204:207], v255
	ds_read_b128 v[156:159], v255 offset:2400
	ds_read_b128 v[160:163], v255 offset:4800
	;; [unrolled: 1-line block ×14, first 2 shown]
	global_load_dwordx4 v[148:151], v170, s[2:3] offset:2256
	global_load_dwordx4 v[152:155], v170, s[2:3] offset:2240
	s_waitcnt vmcnt(0) lgkmcnt(13)
	v_mul_f64 v[168:169], v[158:159], v[154:155]
	v_fma_f64 v[228:229], v[156:157], v[152:153], -v[168:169]
	v_mul_f64 v[156:157], v[156:157], v[154:155]
	v_add_f64 v[22:23], v[204:205], v[228:229]
	v_fma_f64 v[230:231], v[158:159], v[152:153], v[156:157]
	s_waitcnt lgkmcnt(12)
	v_mul_f64 v[156:157], v[162:163], v[150:151]
	v_fma_f64 v[232:233], v[160:161], v[148:149], -v[156:157]
	v_mul_f64 v[156:157], v[160:161], v[150:151]
	v_fma_f64 v[234:235], v[162:163], v[148:149], v[156:157]
	global_load_dwordx4 v[156:159], v6, s[2:3] offset:2256
	global_load_dwordx4 v[160:163], v6, s[2:3] offset:2240
	v_lshlrev_b32_e32 v6, 5, v177
	s_waitcnt vmcnt(0) lgkmcnt(10)
	v_mul_f64 v[168:169], v[166:167], v[162:163]
	v_fma_f64 v[236:237], v[164:165], v[160:161], -v[168:169]
	v_mul_f64 v[164:165], v[164:165], v[162:163]
	v_fma_f64 v[238:239], v[166:167], v[160:161], v[164:165]
	s_waitcnt lgkmcnt(9)
	v_mul_f64 v[164:165], v[173:174], v[158:159]
	v_fma_f64 v[240:241], v[171:172], v[156:157], -v[164:165]
	v_mul_f64 v[164:165], v[171:172], v[158:159]
	v_fma_f64 v[242:243], v[173:174], v[156:157], v[164:165]
	global_load_dwordx4 v[164:167], v6, s[2:3] offset:2256
	global_load_dwordx4 v[168:171], v6, s[2:3] offset:2240
	v_lshlrev_b32_e32 v6, 5, v176
	s_waitcnt vmcnt(0) lgkmcnt(7)
	v_mul_f64 v[172:173], v[183:184], v[170:171]
	v_fma_f64 v[244:245], v[181:182], v[168:169], -v[172:173]
	v_mul_f64 v[172:173], v[181:182], v[170:171]
	v_fma_f64 v[246:247], v[183:184], v[168:169], v[172:173]
	s_waitcnt lgkmcnt(6)
	v_mul_f64 v[172:173], v[210:211], v[166:167]
	v_fma_f64 v[251:252], v[208:209], v[164:165], -v[172:173]
	v_mul_f64 v[172:173], v[208:209], v[166:167]
	v_fma_f64 v[253:254], v[210:211], v[164:165], v[172:173]
	global_load_dwordx4 v[172:175], v6, s[2:3] offset:2256
	global_load_dwordx4 v[176:179], v6, s[2:3] offset:2240
	s_waitcnt vmcnt(1) lgkmcnt(3)
	v_mul_f64 v[10:11], v[218:219], v[174:175]
	s_waitcnt vmcnt(0)
	v_mul_f64 v[181:182], v[214:215], v[178:179]
	v_fma_f64 v[10:11], v[216:217], v[172:173], -v[10:11]
	v_fma_f64 v[6:7], v[212:213], v[176:177], -v[181:182]
	v_mul_f64 v[181:182], v[212:213], v[178:179]
	v_fma_f64 v[8:9], v[214:215], v[176:177], v[181:182]
	v_mul_f64 v[181:182], v[216:217], v[174:175]
	v_fma_f64 v[12:13], v[218:219], v[172:173], v[181:182]
	global_load_dwordx4 v[180:183], v14, s[2:3] offset:2256
	global_load_dwordx4 v[184:187], v14, s[2:3] offset:2240
	s_movk_i32 s2, 0x1c20
	buffer_store_dword v28, off, s[28:31], 0 offset:140 ; 4-byte Folded Spill
	s_waitcnt vmcnt(2) lgkmcnt(0)
	v_mul_f64 v[18:19], v[226:227], v[182:183]
	s_waitcnt vmcnt(1)
	v_mul_f64 v[208:209], v[220:221], v[186:187]
	v_mul_f64 v[14:15], v[222:223], v[186:187]
	v_fma_f64 v[18:19], v[224:225], v[180:181], -v[18:19]
	v_fma_f64 v[16:17], v[222:223], v[184:185], v[208:209]
	v_mul_f64 v[208:209], v[224:225], v[182:183]
	v_fma_f64 v[14:15], v[220:221], v[184:185], -v[14:15]
	v_fma_f64 v[20:21], v[226:227], v[180:181], v[208:209]
	v_add_f64 v[208:209], v[22:23], v[232:233]
	v_add_f64 v[22:23], v[228:229], v[232:233]
	v_fma_f64 v[22:23], v[22:23], -0.5, v[204:205]
	v_add_f64 v[204:205], v[230:231], -v[234:235]
	v_fma_f64 v[212:213], v[204:205], s[4:5], v[22:23]
	v_fma_f64 v[216:217], v[204:205], s[12:13], v[22:23]
	v_add_f64 v[22:23], v[206:207], v[230:231]
	v_add_f64 v[204:205], v[228:229], -v[232:233]
	v_add_f64 v[210:211], v[22:23], v[234:235]
	v_add_f64 v[22:23], v[230:231], v[234:235]
	ds_write_b128 v255, v[208:211]
	v_fma_f64 v[22:23], v[22:23], -0.5, v[206:207]
	v_add_co_u32_e32 v208, vcc, s2, v0
	v_addc_co_u32_e32 v209, vcc, 0, v1, vcc
	s_movk_i32 s2, 0x2000
	v_fma_f64 v[214:215], v[204:205], s[12:13], v[22:23]
	v_fma_f64 v[218:219], v[204:205], s[4:5], v[22:23]
	v_add_f64 v[22:23], v[196:197], v[236:237]
	v_add_f64 v[220:221], v[22:23], v[240:241]
	;; [unrolled: 1-line block ×3, first 2 shown]
	v_fma_f64 v[22:23], v[22:23], -0.5, v[196:197]
	v_add_f64 v[196:197], v[238:239], -v[242:243]
	v_fma_f64 v[224:225], v[196:197], s[4:5], v[22:23]
	v_fma_f64 v[228:229], v[196:197], s[12:13], v[22:23]
	v_add_f64 v[22:23], v[198:199], v[238:239]
	v_add_f64 v[196:197], v[236:237], -v[240:241]
	v_add_f64 v[222:223], v[22:23], v[242:243]
	v_add_f64 v[22:23], v[238:239], v[242:243]
	v_fma_f64 v[22:23], v[22:23], -0.5, v[198:199]
	v_fma_f64 v[226:227], v[196:197], s[12:13], v[22:23]
	v_fma_f64 v[230:231], v[196:197], s[4:5], v[22:23]
	v_add_f64 v[22:23], v[192:193], v[244:245]
	v_add_f64 v[232:233], v[22:23], v[251:252]
	;; [unrolled: 1-line block ×3, first 2 shown]
	v_fma_f64 v[22:23], v[22:23], -0.5, v[192:193]
	v_add_f64 v[192:193], v[246:247], -v[253:254]
	v_fma_f64 v[236:237], v[192:193], s[4:5], v[22:23]
	v_fma_f64 v[240:241], v[192:193], s[12:13], v[22:23]
	v_add_f64 v[22:23], v[194:195], v[246:247]
	v_add_f64 v[192:193], v[244:245], -v[251:252]
	v_add_f64 v[234:235], v[22:23], v[253:254]
	v_add_f64 v[22:23], v[246:247], v[253:254]
	v_fma_f64 v[22:23], v[22:23], -0.5, v[194:195]
	v_fma_f64 v[238:239], v[192:193], s[12:13], v[22:23]
	v_fma_f64 v[242:243], v[192:193], s[4:5], v[22:23]
	v_add_f64 v[22:23], v[188:189], v[6:7]
	v_add_f64 v[192:193], v[8:9], -v[12:13]
	v_add_f64 v[244:245], v[22:23], v[10:11]
	v_add_f64 v[22:23], v[6:7], v[10:11]
	v_add_f64 v[6:7], v[6:7], -v[10:11]
	v_fma_f64 v[22:23], v[22:23], -0.5, v[188:189]
	v_fma_f64 v[188:189], v[192:193], s[4:5], v[22:23]
	v_fma_f64 v[192:193], v[192:193], s[12:13], v[22:23]
	v_add_f64 v[22:23], v[190:191], v[8:9]
	v_add_f64 v[8:9], v[8:9], v[12:13]
	;; [unrolled: 1-line block ×3, first 2 shown]
	v_fma_f64 v[8:9], v[8:9], -0.5, v[190:191]
	v_fma_f64 v[190:191], v[6:7], s[12:13], v[8:9]
	v_fma_f64 v[194:195], v[6:7], s[4:5], v[8:9]
	v_add_f64 v[6:7], v[200:201], v[14:15]
	v_add_f64 v[8:9], v[16:17], -v[20:21]
	v_add_f64 v[196:197], v[6:7], v[18:19]
	v_add_f64 v[6:7], v[14:15], v[18:19]
	v_fma_f64 v[6:7], v[6:7], -0.5, v[200:201]
	v_fma_f64 v[200:201], v[8:9], s[4:5], v[6:7]
	v_fma_f64 v[204:205], v[8:9], s[12:13], v[6:7]
	v_add_f64 v[6:7], v[202:203], v[16:17]
	v_add_f64 v[8:9], v[14:15], -v[18:19]
	v_add_f64 v[198:199], v[6:7], v[20:21]
	v_add_f64 v[6:7], v[16:17], v[20:21]
	v_fma_f64 v[6:7], v[6:7], -0.5, v[202:203]
	v_fma_f64 v[206:207], v[8:9], s[4:5], v[6:7]
	s_movk_i32 s4, 0x1000
	v_fma_f64 v[202:203], v[8:9], s[12:13], v[6:7]
	v_add_co_u32_e32 v7, vcc, s4, v0
	v_lshl_add_u32 v6, v250, 4, v28
	v_addc_co_u32_e32 v8, vcc, 0, v1, vcc
	ds_write_b128 v6, v[212:215] offset:2400
	ds_write_b128 v6, v[216:219] offset:4800
	;; [unrolled: 1-line block ×14, first 2 shown]
	s_waitcnt vmcnt(0) lgkmcnt(0)
	s_barrier
	global_load_dwordx4 v[214:217], v[7:8], off offset:3104
	ds_read_b128 v[210:213], v255
	s_waitcnt vmcnt(0) lgkmcnt(0)
	v_mul_f64 v[7:8], v[212:213], v[216:217]
	v_fma_f64 v[218:219], v[210:211], v[214:215], -v[7:8]
	v_mul_f64 v[7:8], v[210:211], v[216:217]
	v_fma_f64 v[220:221], v[212:213], v[214:215], v[7:8]
	global_load_dwordx4 v[214:217], v[208:209], off offset:720
	ds_read_b128 v[210:213], v255 offset:720
	ds_write_b128 v255, v[218:221]
	s_waitcnt vmcnt(0) lgkmcnt(1)
	v_mul_f64 v[7:8], v[212:213], v[216:217]
	v_fma_f64 v[218:219], v[210:211], v[214:215], -v[7:8]
	v_mul_f64 v[7:8], v[210:211], v[216:217]
	v_fma_f64 v[220:221], v[212:213], v[214:215], v[7:8]
	global_load_dwordx4 v[214:217], v[208:209], off offset:1440
	ds_read_b128 v[210:213], v255 offset:1440
	ds_write_b128 v255, v[218:221] offset:720
	s_waitcnt vmcnt(0) lgkmcnt(1)
	v_mul_f64 v[7:8], v[212:213], v[216:217]
	v_fma_f64 v[218:219], v[210:211], v[214:215], -v[7:8]
	v_mul_f64 v[7:8], v[210:211], v[216:217]
	v_fma_f64 v[220:221], v[212:213], v[214:215], v[7:8]
	global_load_dwordx4 v[214:217], v[208:209], off offset:2160
	ds_read_b128 v[210:213], v255 offset:2160
	ds_write_b128 v255, v[218:221] offset:1440
	;; [unrolled: 8-line block ×4, first 2 shown]
	s_waitcnt vmcnt(0) lgkmcnt(1)
	v_mul_f64 v[7:8], v[212:213], v[216:217]
	v_fma_f64 v[218:219], v[210:211], v[214:215], -v[7:8]
	v_mul_f64 v[7:8], v[210:211], v[216:217]
	v_fma_f64 v[220:221], v[212:213], v[214:215], v[7:8]
	v_add_co_u32_e32 v7, vcc, s2, v0
	v_addc_co_u32_e32 v8, vcc, 0, v1, vcc
	global_load_dwordx4 v[214:217], v[7:8], off offset:3328
	ds_read_b128 v[210:213], v255 offset:4320
	s_movk_i32 s2, 0x3000
	ds_write_b128 v255, v[218:221] offset:3600
	v_add_co_u32_e32 v0, vcc, s2, v0
	v_addc_co_u32_e32 v1, vcc, 0, v1, vcc
	s_waitcnt vmcnt(0) lgkmcnt(1)
	v_mul_f64 v[9:10], v[212:213], v[216:217]
	v_fma_f64 v[218:219], v[210:211], v[214:215], -v[9:10]
	v_mul_f64 v[9:10], v[210:211], v[216:217]
	v_fma_f64 v[220:221], v[212:213], v[214:215], v[9:10]
	global_load_dwordx4 v[214:217], v[7:8], off offset:4048
	ds_read_b128 v[210:213], v255 offset:5040
	ds_write_b128 v255, v[218:221] offset:4320
	s_waitcnt vmcnt(0) lgkmcnt(1)
	v_mul_f64 v[7:8], v[212:213], v[216:217]
	v_fma_f64 v[218:219], v[210:211], v[214:215], -v[7:8]
	v_mul_f64 v[7:8], v[210:211], v[216:217]
	v_fma_f64 v[220:221], v[212:213], v[214:215], v[7:8]
	global_load_dwordx4 v[214:217], v[0:1], off offset:672
	ds_read_b128 v[210:213], v255 offset:5760
	ds_write_b128 v255, v[218:221] offset:5040
	;; [unrolled: 8-line block ×3, first 2 shown]
	s_waitcnt vmcnt(0) lgkmcnt(1)
	v_mul_f64 v[0:1], v[212:213], v[216:217]
	v_fma_f64 v[218:219], v[210:211], v[214:215], -v[0:1]
	v_mul_f64 v[0:1], v[210:211], v[216:217]
	v_fma_f64 v[220:221], v[212:213], v[214:215], v[0:1]
	ds_write_b128 v255, v[218:221] offset:6480
	s_and_saveexec_b64 s[2:3], s[0:1]
	s_cbranch_execz .LBB0_9
; %bb.8:
	global_load_dwordx4 v[214:217], v[208:209], off offset:480
	ds_read_b128 v[210:213], v6 offset:480
	s_waitcnt vmcnt(0) lgkmcnt(0)
	v_mul_f64 v[0:1], v[212:213], v[216:217]
	v_fma_f64 v[218:219], v[210:211], v[214:215], -v[0:1]
	v_mul_f64 v[0:1], v[210:211], v[216:217]
	v_fma_f64 v[220:221], v[212:213], v[214:215], v[0:1]
	global_load_dwordx4 v[214:217], v[208:209], off offset:1200
	ds_read_b128 v[210:213], v6 offset:1200
	ds_write_b128 v6, v[218:221] offset:480
	s_waitcnt vmcnt(0) lgkmcnt(1)
	v_mul_f64 v[0:1], v[212:213], v[216:217]
	v_fma_f64 v[218:219], v[210:211], v[214:215], -v[0:1]
	v_mul_f64 v[0:1], v[210:211], v[216:217]
	v_fma_f64 v[220:221], v[212:213], v[214:215], v[0:1]
	global_load_dwordx4 v[214:217], v[208:209], off offset:1920
	ds_read_b128 v[210:213], v6 offset:1920
	ds_write_b128 v6, v[218:221] offset:1200
	;; [unrolled: 8-line block ×5, first 2 shown]
	s_waitcnt vmcnt(0) lgkmcnt(1)
	v_mul_f64 v[0:1], v[212:213], v[216:217]
	v_fma_f64 v[218:219], v[210:211], v[214:215], -v[0:1]
	v_mul_f64 v[0:1], v[210:211], v[216:217]
	v_fma_f64 v[220:221], v[212:213], v[214:215], v[0:1]
	v_add_co_u32_e32 v0, vcc, s4, v208
	v_addc_co_u32_e32 v1, vcc, 0, v209, vcc
	global_load_dwordx4 v[214:217], v[0:1], off offset:704
	ds_read_b128 v[210:213], v6 offset:4800
	ds_write_b128 v6, v[218:221] offset:4080
	s_waitcnt vmcnt(0) lgkmcnt(1)
	v_mul_f64 v[7:8], v[212:213], v[216:217]
	v_fma_f64 v[208:209], v[210:211], v[214:215], -v[7:8]
	v_mul_f64 v[7:8], v[210:211], v[216:217]
	v_fma_f64 v[210:211], v[212:213], v[214:215], v[7:8]
	global_load_dwordx4 v[212:215], v[0:1], off offset:1424
	ds_write_b128 v6, v[208:211] offset:4800
	ds_read_b128 v[208:211], v6 offset:5520
	s_waitcnt vmcnt(0) lgkmcnt(0)
	v_mul_f64 v[7:8], v[210:211], v[214:215]
	v_fma_f64 v[216:217], v[208:209], v[212:213], -v[7:8]
	v_mul_f64 v[7:8], v[208:209], v[214:215]
	v_fma_f64 v[218:219], v[210:211], v[212:213], v[7:8]
	global_load_dwordx4 v[212:215], v[0:1], off offset:2144
	ds_read_b128 v[208:211], v6 offset:6240
	ds_write_b128 v6, v[216:219] offset:5520
	s_waitcnt vmcnt(0) lgkmcnt(1)
	v_mul_f64 v[7:8], v[210:211], v[214:215]
	v_fma_f64 v[216:217], v[208:209], v[212:213], -v[7:8]
	v_mul_f64 v[7:8], v[208:209], v[214:215]
	v_fma_f64 v[218:219], v[210:211], v[212:213], v[7:8]
	global_load_dwordx4 v[212:215], v[0:1], off offset:2864
	ds_read_b128 v[208:211], v6 offset:6960
	ds_write_b128 v6, v[216:219] offset:6240
	s_waitcnt vmcnt(0) lgkmcnt(1)
	v_mul_f64 v[0:1], v[210:211], v[214:215]
	v_fma_f64 v[216:217], v[208:209], v[212:213], -v[0:1]
	v_mul_f64 v[0:1], v[208:209], v[214:215]
	v_fma_f64 v[218:219], v[210:211], v[212:213], v[0:1]
	ds_write_b128 v6, v[216:219] offset:6960
.LBB0_9:
	s_or_b64 exec, exec, s[2:3]
	s_waitcnt lgkmcnt(0)
	s_barrier
	ds_read_b128 v[232:235], v255
	ds_read_b128 v[224:227], v255 offset:720
	ds_read_b128 v[228:231], v255 offset:1440
	ds_read_b128 v[208:211], v255 offset:2160
	ds_read_b128 v[236:239], v255 offset:2880
	ds_read_b128 v[212:215], v255 offset:3600
	ds_read_b128 v[240:243], v255 offset:4320
	ds_read_b128 v[216:219], v255 offset:5040
	ds_read_b128 v[244:247], v255 offset:5760
	ds_read_b128 v[220:223], v255 offset:6480
	s_and_saveexec_b64 s[2:3], s[0:1]
	s_cbranch_execz .LBB0_11
; %bb.10:
	ds_read_b128 v[188:191], v6 offset:480
	ds_read_b128 v[192:195], v6 offset:1200
	;; [unrolled: 1-line block ×10, first 2 shown]
.LBB0_11:
	s_or_b64 exec, exec, s[2:3]
	s_waitcnt lgkmcnt(7)
	v_add_f64 v[0:1], v[232:233], v[228:229]
	s_waitcnt lgkmcnt(1)
	v_add_f64 v[9:10], v[230:231], -v[246:247]
	s_mov_b32 s12, 0x134454ff
	s_mov_b32 s13, 0xbfee6f0e
	s_mov_b32 s17, 0x3fee6f0e
	s_mov_b32 s16, s12
	v_add_f64 v[11:12], v[238:239], -v[242:243]
	v_add_f64 v[13:14], v[228:229], -v[236:237]
	v_add_f64 v[0:1], v[0:1], v[236:237]
	v_add_f64 v[15:16], v[244:245], -v[240:241]
	s_mov_b32 s4, 0x4755a5e
	s_mov_b32 s5, 0xbfe2cf23
	;; [unrolled: 1-line block ×6, first 2 shown]
	v_add_f64 v[0:1], v[0:1], v[240:241]
	v_add_f64 v[13:14], v[13:14], v[15:16]
	v_add_f64 v[15:16], v[236:237], -v[228:229]
	v_add_f64 v[17:18], v[240:241], -v[244:245]
	;; [unrolled: 1-line block ×4, first 2 shown]
	s_mov_b32 s18, 0x9b97f4a8
	s_mov_b32 s19, 0x3fe9e377
	v_add_f64 v[251:252], v[0:1], v[244:245]
	v_add_f64 v[0:1], v[236:237], v[240:241]
	s_waitcnt lgkmcnt(0)
	v_add_f64 v[236:237], v[220:221], -v[216:217]
	v_add_f64 v[15:16], v[15:16], v[17:18]
	v_add_f64 v[240:241], v[216:217], -v[220:221]
	s_mov_b32 s21, 0xbfd3c6ef
	s_mov_b32 s20, s2
	;; [unrolled: 1-line block ×4, first 2 shown]
	v_fma_f64 v[7:8], v[0:1], -0.5, v[232:233]
	s_barrier
	v_fma_f64 v[0:1], v[9:10], s[12:13], v[7:8]
	v_fma_f64 v[7:8], v[9:10], s[16:17], v[7:8]
	;; [unrolled: 1-line block ×6, first 2 shown]
	v_add_f64 v[7:8], v[228:229], v[244:245]
	v_fma_f64 v[7:8], v[7:8], -0.5, v[232:233]
	v_add_f64 v[232:233], v[242:243], -v[246:247]
	v_fma_f64 v[13:14], v[11:12], s[16:17], v[7:8]
	v_fma_f64 v[7:8], v[11:12], s[12:13], v[7:8]
	v_add_f64 v[11:12], v[238:239], v[242:243]
	v_fma_f64 v[13:14], v[9:10], s[4:5], v[13:14]
	v_fma_f64 v[7:8], v[9:10], s[14:15], v[7:8]
	v_fma_f64 v[11:12], v[11:12], -0.5, v[234:235]
	v_add_f64 v[9:10], v[234:235], v[230:231]
	v_fma_f64 v[13:14], v[15:16], s[2:3], v[13:14]
	v_fma_f64 v[7:8], v[15:16], s[2:3], v[7:8]
	v_add_f64 v[15:16], v[228:229], -v[244:245]
	v_add_f64 v[228:229], v[246:247], -v[242:243]
	v_add_f64 v[9:10], v[9:10], v[238:239]
	v_fma_f64 v[17:18], v[15:16], s[16:17], v[11:12]
	v_fma_f64 v[11:12], v[15:16], s[12:13], v[11:12]
	v_add_f64 v[21:22], v[21:22], v[228:229]
	v_add_f64 v[9:10], v[9:10], v[242:243]
	v_fma_f64 v[17:18], v[19:20], s[14:15], v[17:18]
	v_fma_f64 v[11:12], v[19:20], s[4:5], v[11:12]
	v_add_f64 v[9:10], v[9:10], v[246:247]
	v_fma_f64 v[17:18], v[21:22], s[2:3], v[17:18]
	v_fma_f64 v[11:12], v[21:22], s[2:3], v[11:12]
	v_add_f64 v[21:22], v[230:231], v[246:247]
	v_add_f64 v[230:231], v[238:239], -v[230:231]
	v_fma_f64 v[21:22], v[21:22], -0.5, v[234:235]
	v_add_f64 v[230:231], v[230:231], v[232:233]
	v_add_f64 v[232:233], v[214:215], -v[218:219]
	v_add_f64 v[234:235], v[208:209], -v[212:213]
	v_fma_f64 v[228:229], v[19:20], s[12:13], v[21:22]
	v_fma_f64 v[19:20], v[19:20], s[16:17], v[21:22]
	v_add_f64 v[21:22], v[212:213], v[216:217]
	v_add_f64 v[234:235], v[234:235], v[236:237]
	v_add_f64 v[236:237], v[212:213], -v[208:209]
	v_fma_f64 v[228:229], v[15:16], s[14:15], v[228:229]
	v_fma_f64 v[15:16], v[15:16], s[4:5], v[19:20]
	v_fma_f64 v[21:22], v[21:22], -0.5, v[224:225]
	v_add_f64 v[19:20], v[224:225], v[208:209]
	v_add_f64 v[236:237], v[236:237], v[240:241]
	v_fma_f64 v[238:239], v[230:231], s[2:3], v[228:229]
	v_add_f64 v[228:229], v[210:211], -v[222:223]
	v_fma_f64 v[15:16], v[230:231], s[2:3], v[15:16]
	v_add_f64 v[19:20], v[19:20], v[212:213]
	v_add_f64 v[212:213], v[212:213], -v[216:217]
	v_fma_f64 v[230:231], v[228:229], s[12:13], v[21:22]
	v_fma_f64 v[21:22], v[228:229], s[16:17], v[21:22]
	v_add_f64 v[19:20], v[19:20], v[216:217]
	v_fma_f64 v[230:231], v[232:233], s[4:5], v[230:231]
	v_fma_f64 v[21:22], v[232:233], s[14:15], v[21:22]
	v_add_f64 v[19:20], v[19:20], v[220:221]
	;; [unrolled: 3-line block ×3, first 2 shown]
	v_add_f64 v[208:209], v[208:209], -v[220:221]
	v_mul_f64 v[25:26], v[230:231], s[14:15]
	v_fma_f64 v[224:225], v[234:235], -0.5, v[224:225]
	v_fma_f64 v[234:235], v[232:233], s[16:17], v[224:225]
	v_fma_f64 v[224:225], v[232:233], s[12:13], v[224:225]
	v_add_f64 v[232:233], v[222:223], -v[218:219]
	v_fma_f64 v[234:235], v[228:229], s[4:5], v[234:235]
	v_fma_f64 v[224:225], v[228:229], s[14:15], v[224:225]
	;; [unrolled: 1-line block ×4, first 2 shown]
	v_add_f64 v[224:225], v[226:227], v[210:211]
	v_add_f64 v[224:225], v[224:225], v[214:215]
	;; [unrolled: 1-line block ×5, first 2 shown]
	v_fma_f64 v[224:225], v[224:225], -0.5, v[226:227]
	v_fma_f64 v[220:221], v[208:209], s[16:17], v[224:225]
	v_fma_f64 v[216:217], v[212:213], s[14:15], v[220:221]
	v_add_f64 v[220:221], v[210:211], -v[214:215]
	v_add_f64 v[220:221], v[220:221], v[232:233]
	v_fma_f64 v[232:233], v[220:221], s[2:3], v[216:217]
	v_fma_f64 v[216:217], v[208:209], s[12:13], v[224:225]
	;; [unrolled: 1-line block ×5, first 2 shown]
	v_add_f64 v[216:217], v[210:211], v[222:223]
	v_add_f64 v[210:211], v[214:215], -v[210:211]
	v_add_f64 v[214:215], v[218:219], -v[222:223]
	v_fma_f64 v[216:217], v[216:217], -0.5, v[226:227]
	v_mul_f64 v[226:227], v[236:237], s[22:23]
	v_add_f64 v[210:211], v[210:211], v[214:215]
	v_add_f64 v[214:215], v[17:18], v[25:26]
	v_fma_f64 v[220:221], v[212:213], s[12:13], v[216:217]
	v_fma_f64 v[212:213], v[212:213], s[16:17], v[216:217]
	;; [unrolled: 1-line block ×6, first 2 shown]
	v_mul_f64 v[210:211], v[232:233], s[4:5]
	v_add_f64 v[208:209], v[251:252], v[19:20]
	v_mul_f64 v[29:30], v[222:223], s[20:21]
	v_fma_f64 v[240:241], v[230:231], s[18:19], v[210:211]
	v_mul_f64 v[210:211], v[218:219], s[12:13]
	v_mul_f64 v[218:219], v[218:219], s[2:3]
	v_add_f64 v[230:231], v[9:10], -v[242:243]
	v_fma_f64 v[29:30], v[228:229], s[16:17], v[29:30]
	v_add_f64 v[212:213], v[0:1], v[240:241]
	v_fma_f64 v[244:245], v[234:235], s[2:3], v[210:211]
	v_mul_f64 v[210:211], v[222:223], s[12:13]
	v_fma_f64 v[27:28], v[234:235], s[16:17], v[218:219]
	v_add_f64 v[232:233], v[0:1], -v[240:241]
	v_add_f64 v[234:235], v[17:18], -v[25:26]
	v_add_f64 v[222:223], v[15:16], v[29:30]
	v_add_f64 v[216:217], v[13:14], v[244:245]
	v_fma_f64 v[246:247], v[228:229], s[20:21], v[210:211]
	v_mul_f64 v[210:211], v[236:237], s[4:5]
	v_add_f64 v[218:219], v[238:239], v[27:28]
	v_add_f64 v[228:229], v[251:252], -v[19:20]
	v_add_f64 v[236:237], v[13:14], -v[244:245]
	;; [unrolled: 1-line block ×3, first 2 shown]
	v_add_f64 v[220:221], v[7:8], v[246:247]
	v_fma_f64 v[23:24], v[21:22], s[22:23], v[210:211]
	v_fma_f64 v[21:22], v[21:22], s[14:15], v[226:227]
	v_add_f64 v[210:211], v[9:10], v[242:243]
	v_add_f64 v[240:241], v[7:8], -v[246:247]
	v_add_f64 v[242:243], v[15:16], -v[29:30]
	v_add_f64 v[224:225], v[253:254], v[23:24]
	v_add_f64 v[226:227], v[11:12], v[21:22]
	v_add_f64 v[244:245], v[253:254], -v[23:24]
	v_add_f64 v[246:247], v[11:12], -v[21:22]
	ds_write_b128 v4, v[208:211]
	ds_write_b128 v4, v[212:215] offset:16
	ds_write_b128 v4, v[216:219] offset:32
	ds_write_b128 v4, v[220:223] offset:48
	ds_write_b128 v4, v[224:227] offset:64
	ds_write_b128 v4, v[228:231] offset:80
	ds_write_b128 v4, v[232:235] offset:96
	ds_write_b128 v4, v[236:239] offset:112
	ds_write_b128 v4, v[240:243] offset:128
	ds_write_b128 v4, v[244:247] offset:144
	s_and_saveexec_b64 s[24:25], s[0:1]
	s_cbranch_execz .LBB0_13
; %bb.12:
	v_add_f64 v[0:1], v[42:43], v[50:51]
	v_add_f64 v[19:20], v[200:201], -v[64:65]
	v_add_f64 v[17:18], v[40:41], v[48:49]
	v_add_f64 v[21:22], v[200:201], -v[40:41]
	v_add_f64 v[23:24], v[64:65], -v[48:49]
	;; [unrolled: 1-line block ×5, first 2 shown]
	v_fma_f64 v[0:1], v[0:1], -0.5, v[194:195]
	v_add_f64 v[218:219], v[202:203], v[66:67]
	v_add_f64 v[7:8], v[198:199], -v[206:207]
	v_add_f64 v[9:10], v[54:55], -v[46:47]
	v_add_f64 v[11:12], v[206:207], v[46:47]
	v_add_f64 v[25:26], v[202:203], -v[66:67]
	v_fma_f64 v[17:18], v[17:18], -0.5, v[192:193]
	v_add_f64 v[27:28], v[27:28], v[29:30]
	v_fma_f64 v[208:209], v[19:20], s[12:13], v[0:1]
	v_add_f64 v[224:225], v[200:201], v[64:65]
	v_add_f64 v[21:22], v[21:22], v[23:24]
	v_fma_f64 v[23:24], v[218:219], -0.5, v[194:195]
	v_add_f64 v[13:14], v[196:197], -v[52:53]
	v_add_f64 v[212:213], v[42:43], -v[50:51]
	v_fma_f64 v[11:12], v[11:12], -0.5, v[190:191]
	v_fma_f64 v[29:30], v[25:26], s[16:17], v[17:18]
	v_fma_f64 v[208:209], v[210:211], s[4:5], v[208:209]
	v_add_f64 v[220:221], v[198:199], v[54:55]
	v_add_f64 v[228:229], v[50:51], -v[66:67]
	v_add_f64 v[7:8], v[7:8], v[9:10]
	v_fma_f64 v[9:10], v[224:225], -0.5, v[192:193]
	v_fma_f64 v[224:225], v[210:211], s[16:17], v[23:24]
	v_fma_f64 v[23:24], v[210:211], s[12:13], v[23:24]
	;; [unrolled: 1-line block ×4, first 2 shown]
	v_add_f64 v[208:209], v[42:43], -v[202:203]
	v_add_f64 v[15:16], v[204:205], -v[44:45]
	;; [unrolled: 1-line block ×5, first 2 shown]
	v_fma_f64 v[218:219], v[13:14], s[12:13], v[11:12]
	v_fma_f64 v[29:30], v[212:213], s[14:15], v[29:30]
	v_fma_f64 v[220:221], v[220:221], -0.5, v[190:191]
	v_add_f64 v[232:233], v[48:49], -v[64:65]
	v_add_f64 v[228:229], v[208:209], v[228:229]
	v_fma_f64 v[208:209], v[212:213], s[12:13], v[9:10]
	v_fma_f64 v[9:10], v[212:213], s[16:17], v[9:10]
	;; [unrolled: 1-line block ×9, first 2 shown]
	v_add_f64 v[214:215], v[214:215], v[216:217]
	v_add_f64 v[216:217], v[222:223], v[232:233]
	v_fma_f64 v[220:221], v[15:16], s[12:13], v[220:221]
	v_fma_f64 v[9:10], v[25:26], s[4:5], v[9:10]
	;; [unrolled: 1-line block ×4, first 2 shown]
	v_add_f64 v[15:16], v[204:205], v[44:45]
	v_fma_f64 v[17:18], v[21:22], s[2:3], v[17:18]
	v_fma_f64 v[0:1], v[210:211], s[14:15], v[0:1]
	v_add_f64 v[21:22], v[190:191], v[198:199]
	v_add_f64 v[190:191], v[194:195], v[202:203]
	v_fma_f64 v[218:219], v[7:8], s[2:3], v[218:219]
	v_fma_f64 v[9:10], v[216:217], s[2:3], v[9:10]
	v_mul_f64 v[212:213], v[23:24], s[2:3]
	v_fma_f64 v[7:8], v[7:8], s[2:3], v[11:12]
	v_fma_f64 v[11:12], v[15:16], -0.5, v[188:189]
	v_add_f64 v[15:16], v[198:199], -v[54:55]
	v_fma_f64 v[0:1], v[27:28], s[2:3], v[0:1]
	v_add_f64 v[27:28], v[190:191], v[42:43]
	v_add_f64 v[202:203], v[196:197], v[52:53]
	v_fma_f64 v[232:233], v[13:14], s[4:5], v[234:235]
	v_fma_f64 v[13:14], v[13:14], s[14:15], v[220:221]
	;; [unrolled: 1-line block ×3, first 2 shown]
	v_mul_f64 v[198:199], v[17:18], s[14:15]
	v_add_f64 v[21:22], v[21:22], v[206:207]
	v_add_f64 v[190:191], v[196:197], -v[204:205]
	v_add_f64 v[210:211], v[52:53], -v[44:45]
	v_fma_f64 v[212:213], v[15:16], s[16:17], v[11:12]
	v_add_f64 v[206:207], v[206:207], -v[46:47]
	v_fma_f64 v[202:203], v[202:203], -0.5, v[188:189]
	v_add_f64 v[27:28], v[27:28], v[50:51]
	v_fma_f64 v[11:12], v[15:16], s[12:13], v[11:12]
	v_fma_f64 v[222:223], v[25:26], s[14:15], v[208:209]
	;; [unrolled: 1-line block ×5, first 2 shown]
	v_add_f64 v[21:22], v[21:22], v[46:47]
	v_add_f64 v[190:191], v[190:191], v[210:211]
	v_fma_f64 v[214:215], v[206:207], s[12:13], v[202:203]
	v_add_f64 v[27:28], v[27:28], v[66:67]
	v_fma_f64 v[66:67], v[206:207], s[16:17], v[202:203]
	v_add_f64 v[188:189], v[188:189], v[196:197]
	v_add_f64 v[192:193], v[192:193], v[200:201]
	v_fma_f64 v[11:12], v[206:207], s[4:5], v[11:12]
	v_mul_f64 v[0:1], v[0:1], s[4:5]
	v_mul_f64 v[230:231], v[226:227], s[22:23]
	v_add_f64 v[21:22], v[21:22], v[54:55]
	v_add_f64 v[54:55], v[204:205], -v[196:197]
	v_mul_f64 v[196:197], v[226:227], s[4:5]
	v_fma_f64 v[200:201], v[15:16], s[14:15], v[214:215]
	v_fma_f64 v[66:67], v[15:16], s[4:5], v[66:67]
	v_add_f64 v[15:16], v[188:189], v[204:205]
	v_add_f64 v[40:41], v[192:193], v[40:41]
	v_fma_f64 v[11:12], v[190:191], s[2:3], v[11:12]
	v_fma_f64 v[0:1], v[17:18], s[18:19], v[0:1]
	;; [unrolled: 1-line block ×4, first 2 shown]
	v_add_f64 v[212:213], v[44:45], -v[52:53]
	v_fma_f64 v[29:30], v[29:30], s[22:23], v[196:197]
	v_add_f64 v[15:16], v[15:16], v[44:45]
	v_add_f64 v[44:45], v[40:41], v[48:49]
	v_fma_f64 v[224:225], v[19:20], s[4:5], v[224:225]
	v_add_f64 v[196:197], v[11:12], v[0:1]
	v_add_f64 v[48:49], v[11:12], -v[0:1]
	buffer_load_dword v0, off, s[28:31], 0 offset:140 ; 4-byte Folded Reload
	buffer_load_dword v1, off, s[28:31], 0 offset:144 ; 4-byte Folded Reload
	v_mul_f64 v[23:24], v[23:24], s[12:13]
	v_add_f64 v[54:55], v[54:55], v[212:213]
	v_fma_f64 v[222:223], v[216:217], s[2:3], v[222:223]
	v_add_f64 v[15:16], v[15:16], v[52:53]
	v_fma_f64 v[224:225], v[228:229], s[2:3], v[224:225]
	v_fma_f64 v[210:211], v[190:191], s[2:3], v[210:211]
	v_add_f64 v[50:51], v[7:8], -v[198:199]
	v_add_f64 v[198:199], v[7:8], v[198:199]
	v_fma_f64 v[9:10], v[9:10], s[2:3], v[23:24]
	v_add_f64 v[23:24], v[44:45], v[64:65]
	v_fma_f64 v[192:193], v[54:55], s[2:3], v[66:67]
	v_fma_f64 v[188:189], v[54:55], s[2:3], v[200:201]
	v_mul_f64 v[234:235], v[224:225], s[20:21]
	v_mul_f64 v[202:203], v[224:225], s[12:13]
	v_add_f64 v[46:47], v[13:14], -v[194:195]
	v_add_f64 v[194:195], v[13:14], v[194:195]
	v_add_f64 v[66:67], v[218:219], v[230:231]
	;; [unrolled: 1-line block ×3, first 2 shown]
	v_add_f64 v[44:45], v[192:193], -v[9:10]
	v_add_f64 v[192:193], v[192:193], v[9:10]
	v_fma_f64 v[19:20], v[222:223], s[16:17], v[234:235]
	v_fma_f64 v[204:205], v[222:223], s[20:21], v[202:203]
	v_add_f64 v[202:203], v[21:22], v[27:28]
	v_add_f64 v[64:65], v[210:211], v[29:30]
	v_add_f64 v[54:55], v[21:22], -v[27:28]
	v_add_f64 v[52:53], v[15:16], -v[23:24]
	;; [unrolled: 1-line block ×4, first 2 shown]
	v_add_f64 v[190:191], v[25:26], v[19:20]
	v_add_f64 v[40:41], v[188:189], -v[204:205]
	v_add_f64 v[188:189], v[188:189], v[204:205]
	v_add_f64 v[42:43], v[25:26], -v[19:20]
	s_waitcnt vmcnt(0)
	v_lshl_add_u32 v0, v1, 4, v0
	ds_write_b128 v0, v[200:203]
	ds_write_b128 v0, v[196:199] offset:16
	ds_write_b128 v0, v[192:195] offset:32
	ds_write_b128 v0, v[188:191] offset:48
	ds_write_b128 v0, v[64:67] offset:64
	ds_write_b128 v0, v[52:55] offset:80
	ds_write_b128 v0, v[48:51] offset:96
	ds_write_b128 v0, v[44:47] offset:112
	ds_write_b128 v0, v[40:43] offset:128
	ds_write_b128 v0, v[206:209] offset:144
.LBB0_13:
	s_or_b64 exec, exec, s[24:25]
	s_waitcnt lgkmcnt(0)
	s_barrier
	ds_read_b128 v[40:43], v255 offset:1440
	ds_read_b128 v[44:47], v255
	ds_read_b128 v[48:51], v255 offset:480
	ds_read_b128 v[52:55], v255 offset:2880
	;; [unrolled: 1-line block ×10, first 2 shown]
	s_waitcnt lgkmcnt(8)
	v_mul_f64 v[9:10], v[70:71], v[54:55]
	v_mul_f64 v[7:8], v[74:75], v[40:41]
	s_waitcnt lgkmcnt(6)
	v_mul_f64 v[19:20], v[58:59], v[188:189]
	s_waitcnt lgkmcnt(1)
	v_mul_f64 v[13:14], v[62:63], v[210:211]
	v_mul_f64 v[15:16], v[62:63], v[208:209]
	;; [unrolled: 1-line block ×5, first 2 shown]
	v_fma_f64 v[9:10], v[68:69], v[52:53], v[9:10]
	v_fma_f64 v[7:8], v[72:73], v[42:43], -v[7:8]
	v_mul_f64 v[25:26], v[86:87], v[66:67]
	v_fma_f64 v[13:14], v[60:61], v[208:209], v[13:14]
	v_fma_f64 v[15:16], v[60:61], v[210:211], -v[15:16]
	v_fma_f64 v[19:20], v[56:57], v[190:191], -v[19:20]
	v_mul_f64 v[42:43], v[78:79], v[194:195]
	v_mul_f64 v[52:53], v[78:79], v[192:193]
	v_fma_f64 v[0:1], v[72:73], v[40:41], v[0:1]
	v_fma_f64 v[11:12], v[68:69], v[54:55], -v[11:12]
	v_mul_f64 v[21:22], v[90:91], v[202:203]
	v_add_f64 v[60:61], v[9:10], v[13:14]
	v_mul_f64 v[23:24], v[90:91], v[200:201]
	v_mul_f64 v[27:28], v[86:87], v[64:65]
	v_fma_f64 v[17:18], v[56:57], v[188:189], v[17:18]
	v_fma_f64 v[25:26], v[84:85], v[64:65], v[25:26]
	v_mul_f64 v[54:55], v[106:107], v[206:207]
	v_mul_f64 v[56:57], v[106:107], v[204:205]
	s_waitcnt lgkmcnt(0)
	v_mul_f64 v[58:59], v[102:103], v[214:215]
	v_fma_f64 v[64:65], v[76:77], v[192:193], v[42:43]
	v_fma_f64 v[70:71], v[76:77], v[194:195], -v[52:53]
	v_fma_f64 v[42:43], v[60:61], -0.5, v[44:45]
	v_add_f64 v[52:53], v[7:8], -v[19:20]
	ds_read_b128 v[216:219], v255 offset:4800
	ds_read_b128 v[220:223], v255 offset:5280
	;; [unrolled: 1-line block ×3, first 2 shown]
	v_fma_f64 v[21:22], v[88:89], v[200:201], v[21:22]
	v_fma_f64 v[23:24], v[88:89], v[202:203], -v[23:24]
	s_waitcnt lgkmcnt(2)
	v_mul_f64 v[29:30], v[82:83], v[218:219]
	v_mul_f64 v[40:41], v[82:83], v[216:217]
	v_fma_f64 v[82:83], v[104:105], v[204:205], v[54:55]
	v_fma_f64 v[86:87], v[104:105], v[206:207], -v[56:57]
	v_fma_f64 v[88:89], v[100:101], v[212:213], v[58:59]
	v_mul_f64 v[54:55], v[102:103], v[212:213]
	s_waitcnt lgkmcnt(1)
	v_mul_f64 v[56:57], v[98:99], v[222:223]
	v_mul_f64 v[58:59], v[98:99], v[220:221]
	s_waitcnt lgkmcnt(0)
	v_mul_f64 v[62:63], v[94:95], v[224:225]
	v_add_f64 v[68:69], v[0:1], v[17:18]
	v_fma_f64 v[72:73], v[52:53], s[12:13], v[42:43]
	v_add_f64 v[74:75], v[11:12], -v[15:16]
	v_fma_f64 v[27:28], v[84:85], v[66:67], -v[27:28]
	v_fma_f64 v[66:67], v[80:81], v[218:219], -v[40:41]
	v_add_f64 v[40:41], v[44:45], v[0:1]
	v_mul_f64 v[60:61], v[94:95], v[226:227]
	v_fma_f64 v[90:91], v[100:101], v[214:215], -v[54:55]
	v_fma_f64 v[94:95], v[96:97], v[220:221], v[56:57]
	v_fma_f64 v[96:97], v[96:97], v[222:223], -v[58:59]
	v_fma_f64 v[100:101], v[92:93], v[226:227], -v[62:63]
	v_fma_f64 v[44:45], v[68:69], -0.5, v[44:45]
	v_fma_f64 v[54:55], v[74:75], s[4:5], v[72:73]
	v_add_f64 v[56:57], v[0:1], -v[9:10]
	v_add_f64 v[58:59], v[46:47], v[7:8]
	v_add_f64 v[62:63], v[17:18], -v[13:14]
	v_add_f64 v[72:73], v[9:10], -v[0:1]
	;; [unrolled: 1-line block ×3, first 2 shown]
	v_add_f64 v[40:41], v[40:41], v[9:10]
	v_fma_f64 v[98:99], v[92:93], v[224:225], v[60:61]
	v_add_f64 v[60:61], v[11:12], v[15:16]
	v_fma_f64 v[42:43], v[52:53], s[16:17], v[42:43]
	v_fma_f64 v[68:69], v[74:75], s[16:17], v[44:45]
	;; [unrolled: 1-line block ×3, first 2 shown]
	v_add_f64 v[58:59], v[58:59], v[11:12]
	v_add_f64 v[56:57], v[56:57], v[62:63]
	v_add_f64 v[62:63], v[72:73], v[76:77]
	v_add_f64 v[72:73], v[7:8], v[19:20]
	v_add_f64 v[40:41], v[40:41], v[13:14]
	v_fma_f64 v[78:79], v[60:61], -0.5, v[46:47]
	v_add_f64 v[0:1], v[0:1], -v[17:18]
	v_fma_f64 v[42:43], v[74:75], s[14:15], v[42:43]
	v_fma_f64 v[60:61], v[52:53], s[4:5], v[68:69]
	;; [unrolled: 1-line block ×3, first 2 shown]
	v_add_f64 v[58:59], v[58:59], v[15:16]
	v_add_f64 v[9:10], v[9:10], -v[13:14]
	v_fma_f64 v[13:14], v[72:73], -0.5, v[46:47]
	v_fma_f64 v[29:30], v[80:81], v[216:217], v[29:30]
	v_fma_f64 v[74:75], v[0:1], s[16:17], v[78:79]
	v_fma_f64 v[44:45], v[56:57], s[2:3], v[54:55]
	v_fma_f64 v[52:53], v[56:57], s[2:3], v[42:43]
	v_fma_f64 v[56:57], v[62:63], s[2:3], v[60:61]
	v_fma_f64 v[60:61], v[62:63], s[2:3], v[68:69]
	v_add_f64 v[42:43], v[58:59], v[19:20]
	v_add_f64 v[46:47], v[7:8], -v[11:12]
	v_add_f64 v[54:55], v[19:20], -v[15:16]
	v_add_f64 v[58:59], v[48:49], v[21:22]
	v_fma_f64 v[62:63], v[0:1], s[12:13], v[78:79]
	v_fma_f64 v[72:73], v[9:10], s[12:13], v[13:14]
	v_add_f64 v[7:8], v[11:12], -v[7:8]
	v_add_f64 v[11:12], v[15:16], -v[19:20]
	v_fma_f64 v[13:14], v[9:10], s[16:17], v[13:14]
	v_add_f64 v[68:69], v[25:26], v[29:30]
	v_add_f64 v[40:41], v[40:41], v[17:18]
	v_fma_f64 v[17:18], v[9:10], s[14:15], v[74:75]
	v_add_f64 v[15:16], v[46:47], v[54:55]
	v_add_f64 v[19:20], v[58:59], v[25:26]
	v_fma_f64 v[9:10], v[9:10], s[4:5], v[62:63]
	v_fma_f64 v[58:59], v[0:1], s[14:15], v[72:73]
	v_add_f64 v[7:8], v[7:8], v[11:12]
	v_fma_f64 v[0:1], v[0:1], s[4:5], v[13:14]
	v_add_f64 v[11:12], v[21:22], v[64:65]
	v_fma_f64 v[68:69], v[68:69], -0.5, v[48:49]
	v_add_f64 v[74:75], v[23:24], -v[70:71]
	v_add_f64 v[13:14], v[19:20], v[29:30]
	v_fma_f64 v[46:47], v[15:16], s[2:3], v[17:18]
	v_fma_f64 v[54:55], v[15:16], s[2:3], v[9:10]
	v_add_f64 v[15:16], v[27:28], -v[66:67]
	v_fma_f64 v[62:63], v[7:8], s[2:3], v[0:1]
	v_fma_f64 v[0:1], v[11:12], -0.5, v[48:49]
	v_fma_f64 v[58:59], v[7:8], s[2:3], v[58:59]
	v_fma_f64 v[9:10], v[74:75], s[12:13], v[68:69]
	v_add_f64 v[7:8], v[21:22], -v[25:26]
	v_add_f64 v[11:12], v[64:65], -v[29:30]
	v_add_f64 v[48:49], v[13:14], v[64:65]
	v_fma_f64 v[13:14], v[74:75], s[16:17], v[68:69]
	v_add_f64 v[17:18], v[50:51], v[23:24]
	v_add_f64 v[19:20], v[27:28], v[66:67]
	v_fma_f64 v[68:69], v[15:16], s[16:17], v[0:1]
	v_add_f64 v[72:73], v[25:26], -v[21:22]
	v_add_f64 v[76:77], v[29:30], -v[64:65]
	v_fma_f64 v[9:10], v[15:16], s[4:5], v[9:10]
	v_add_f64 v[7:8], v[7:8], v[11:12]
	v_fma_f64 v[0:1], v[15:16], s[12:13], v[0:1]
	v_fma_f64 v[11:12], v[15:16], s[14:15], v[13:14]
	v_add_f64 v[13:14], v[17:18], v[27:28]
	v_fma_f64 v[15:16], v[19:20], -0.5, v[50:51]
	v_add_f64 v[17:18], v[21:22], -v[64:65]
	v_fma_f64 v[19:20], v[74:75], s[4:5], v[68:69]
	v_add_f64 v[21:22], v[72:73], v[76:77]
	v_fma_f64 v[64:65], v[7:8], s[2:3], v[9:10]
	v_fma_f64 v[0:1], v[74:75], s[14:15], v[0:1]
	v_add_f64 v[9:10], v[23:24], v[70:71]
	v_fma_f64 v[68:69], v[7:8], s[2:3], v[11:12]
	v_add_f64 v[7:8], v[13:14], v[66:67]
	v_fma_f64 v[11:12], v[17:18], s[16:17], v[15:16]
	v_add_f64 v[13:14], v[25:26], -v[29:30]
	v_fma_f64 v[72:73], v[21:22], s[2:3], v[19:20]
	v_add_f64 v[19:20], v[88:89], v[94:95]
	v_add_f64 v[25:26], v[23:24], -v[27:28]
	v_add_f64 v[29:30], v[70:71], -v[66:67]
	v_fma_f64 v[76:77], v[21:22], s[2:3], v[0:1]
	v_fma_f64 v[0:1], v[9:10], -0.5, v[50:51]
	v_add_f64 v[50:51], v[7:8], v[70:71]
	v_fma_f64 v[7:8], v[13:14], s[14:15], v[11:12]
	v_fma_f64 v[15:16], v[17:18], s[12:13], v[15:16]
	v_fma_f64 v[11:12], v[19:20], -0.5, v[196:197]
	v_add_f64 v[19:20], v[86:87], -v[100:101]
	v_add_f64 v[21:22], v[25:26], v[29:30]
	v_add_f64 v[23:24], v[27:28], -v[23:24]
	v_fma_f64 v[25:26], v[13:14], s[12:13], v[0:1]
	v_add_f64 v[27:28], v[66:67], -v[70:71]
	v_fma_f64 v[0:1], v[13:14], s[16:17], v[0:1]
	v_add_f64 v[92:93], v[90:91], -v[96:97]
	v_add_f64 v[66:67], v[82:83], -v[88:89]
	v_fma_f64 v[29:30], v[19:20], s[12:13], v[11:12]
	v_add_f64 v[70:71], v[98:99], -v[94:95]
	v_add_f64 v[9:10], v[196:197], v[82:83]
	v_fma_f64 v[13:14], v[13:14], s[4:5], v[15:16]
	v_add_f64 v[15:16], v[82:83], v[98:99]
	v_add_f64 v[23:24], v[23:24], v[27:28]
	v_fma_f64 v[0:1], v[17:18], s[4:5], v[0:1]
	v_fma_f64 v[25:26], v[17:18], s[14:15], v[25:26]
	;; [unrolled: 1-line block ×3, first 2 shown]
	v_add_f64 v[27:28], v[66:67], v[70:71]
	v_add_f64 v[9:10], v[9:10], v[88:89]
	v_fma_f64 v[66:67], v[21:22], s[2:3], v[7:8]
	v_fma_f64 v[7:8], v[15:16], -0.5, v[196:197]
	v_add_f64 v[15:16], v[86:87], v[100:101]
	v_fma_f64 v[78:79], v[23:24], s[2:3], v[0:1]
	v_add_f64 v[0:1], v[90:91], v[96:97]
	v_fma_f64 v[70:71], v[21:22], s[2:3], v[13:14]
	v_fma_f64 v[84:85], v[27:28], s[2:3], v[17:18]
	v_add_f64 v[13:14], v[88:89], -v[82:83]
	v_add_f64 v[17:18], v[94:95], -v[98:99]
	v_add_f64 v[21:22], v[198:199], v[86:87]
	v_add_f64 v[9:10], v[9:10], v[94:95]
	v_fma_f64 v[74:75], v[23:24], s[2:3], v[25:26]
	v_fma_f64 v[0:1], v[0:1], -0.5, v[198:199]
	v_add_f64 v[23:24], v[82:83], -v[98:99]
	v_add_f64 v[25:26], v[88:89], -v[94:95]
	v_fma_f64 v[15:16], v[15:16], -0.5, v[198:199]
	v_add_f64 v[13:14], v[13:14], v[17:18]
	v_add_f64 v[17:18], v[21:22], v[90:91]
	;; [unrolled: 1-line block ×3, first 2 shown]
	v_fma_f64 v[9:10], v[19:20], s[16:17], v[11:12]
	v_fma_f64 v[11:12], v[92:93], s[16:17], v[7:8]
	;; [unrolled: 1-line block ×4, first 2 shown]
	v_add_f64 v[29:30], v[86:87], -v[90:91]
	v_add_f64 v[82:83], v[100:101], -v[96:97]
	v_fma_f64 v[0:1], v[23:24], s[12:13], v[0:1]
	v_fma_f64 v[88:89], v[25:26], s[12:13], v[15:16]
	v_add_f64 v[86:87], v[90:91], -v[86:87]
	v_add_f64 v[90:91], v[96:97], -v[100:101]
	v_fma_f64 v[15:16], v[25:26], s[16:17], v[15:16]
	v_add_f64 v[17:18], v[17:18], v[96:97]
	v_fma_f64 v[9:10], v[92:93], s[14:15], v[9:10]
	v_fma_f64 v[11:12], v[19:20], s[4:5], v[11:12]
	;; [unrolled: 1-line block ×4, first 2 shown]
	v_add_f64 v[21:22], v[29:30], v[82:83]
	v_fma_f64 v[0:1], v[25:26], s[4:5], v[0:1]
	v_fma_f64 v[25:26], v[23:24], s[14:15], v[88:89]
	v_add_f64 v[29:30], v[86:87], v[90:91]
	v_fma_f64 v[15:16], v[23:24], s[4:5], v[15:16]
	v_add_f64 v[82:83], v[17:18], v[100:101]
	v_fma_f64 v[88:89], v[27:28], s[2:3], v[9:10]
	v_fma_f64 v[92:93], v[13:14], s[2:3], v[11:12]
	;; [unrolled: 1-line block ×7, first 2 shown]
	s_barrier
	ds_write_b128 v2, v[40:43]
	ds_write_b128 v2, v[44:47] offset:160
	ds_write_b128 v2, v[56:59] offset:320
	ds_write_b128 v2, v[60:63] offset:480
	ds_write_b128 v2, v[52:55] offset:640
	ds_write_b128 v3, v[48:51]
	ds_write_b128 v3, v[64:67] offset:160
	ds_write_b128 v3, v[72:75] offset:320
	ds_write_b128 v3, v[76:79] offset:480
	ds_write_b128 v3, v[68:71] offset:640
	;; [unrolled: 5-line block ×3, first 2 shown]
	s_waitcnt lgkmcnt(0)
	s_barrier
	ds_read_b128 v[0:3], v255 offset:2400
	ds_read_b128 v[40:43], v255
	ds_read_b128 v[44:47], v255 offset:480
	ds_read_b128 v[48:51], v255 offset:4800
	;; [unrolled: 1-line block ×10, first 2 shown]
	s_waitcnt lgkmcnt(11)
	v_mul_f64 v[4:5], v[114:115], v[2:3]
	v_mul_f64 v[7:8], v[114:115], v[0:1]
	s_waitcnt lgkmcnt(8)
	v_mul_f64 v[9:10], v[110:111], v[50:51]
	v_mul_f64 v[11:12], v[110:111], v[48:49]
	s_waitcnt lgkmcnt(6)
	v_mul_f64 v[13:14], v[122:123], v[58:59]
	ds_read_b128 v[84:87], v255 offset:3840
	ds_read_b128 v[88:91], v255 offset:4320
	s_waitcnt lgkmcnt(7)
	v_mul_f64 v[17:18], v[130:131], v[62:63]
	v_mul_f64 v[19:20], v[130:131], v[60:61]
	v_fma_f64 v[4:5], v[112:113], v[0:1], v[4:5]
	v_mul_f64 v[0:1], v[118:119], v[54:55]
	v_fma_f64 v[2:3], v[112:113], v[2:3], -v[7:8]
	v_fma_f64 v[7:8], v[108:109], v[48:49], v[9:10]
	v_fma_f64 v[9:10], v[108:109], v[50:51], -v[11:12]
	v_fma_f64 v[11:12], v[120:121], v[56:57], v[13:14]
	v_mul_f64 v[13:14], v[118:119], v[52:53]
	s_waitcnt lgkmcnt(1)
	v_mul_f64 v[27:28], v[138:139], v[84:85]
	s_waitcnt lgkmcnt(0)
	v_mul_f64 v[48:49], v[146:147], v[90:91]
	v_fma_f64 v[21:22], v[116:117], v[52:53], v[0:1]
	v_mul_f64 v[0:1], v[126:127], v[74:75]
	v_mul_f64 v[52:53], v[146:147], v[88:89]
	v_fma_f64 v[17:18], v[128:129], v[60:61], v[17:18]
	v_add_f64 v[50:51], v[4:5], v[7:8]
	v_mul_f64 v[25:26], v[138:139], v[86:87]
	v_fma_f64 v[27:28], v[136:137], v[86:87], -v[27:28]
	v_fma_f64 v[86:87], v[144:145], v[88:89], v[48:49]
	v_mul_f64 v[29:30], v[134:135], v[78:79]
	v_fma_f64 v[60:61], v[124:125], v[72:73], v[0:1]
	v_mul_f64 v[0:1], v[134:135], v[76:77]
	v_fma_f64 v[88:89], v[144:145], v[90:91], -v[52:53]
	v_add_f64 v[52:53], v[2:3], v[9:10]
	v_fma_f64 v[48:49], v[50:51], -0.5, v[40:41]
	v_add_f64 v[50:51], v[2:3], -v[9:10]
	v_add_f64 v[2:3], v[42:43], v[2:3]
	s_mov_b32 s2, 0xe8584caa
	s_mov_b32 s3, 0xbfebb67a
	v_fma_f64 v[78:79], v[132:133], v[78:79], -v[0:1]
	v_add_f64 v[0:1], v[40:41], v[4:5]
	v_fma_f64 v[52:53], v[52:53], -0.5, v[42:43]
	v_add_f64 v[4:5], v[4:5], -v[7:8]
	s_mov_b32 s5, 0x3febb67a
	s_mov_b32 s4, s2
	v_add_f64 v[2:3], v[2:3], v[9:10]
	v_fma_f64 v[40:41], v[50:51], s[2:3], v[48:49]
	v_fma_f64 v[48:49], v[50:51], s[4:5], v[48:49]
	v_add_f64 v[0:1], v[0:1], v[7:8]
	ds_read_b128 v[92:95], v255 offset:6720
	v_fma_f64 v[42:43], v[4:5], s[4:5], v[52:53]
	v_fma_f64 v[50:51], v[4:5], s[2:3], v[52:53]
	s_waitcnt lgkmcnt(0)
	s_barrier
	ds_write_b128 v255, v[0:3]
	ds_write_b128 v255, v[40:43] offset:800
	ds_write_b128 v255, v[48:51] offset:1600
	buffer_load_dword v0, off, s[28:31], 0 offset:128 ; 4-byte Folded Reload
	v_mul_f64 v[15:16], v[122:123], v[56:57]
	v_fma_f64 v[13:14], v[116:117], v[54:55], -v[13:14]
	v_mul_f64 v[54:55], v[142:143], v[94:95]
	v_mul_f64 v[23:24], v[126:127], v[72:73]
	;; [unrolled: 1-line block ×3, first 2 shown]
	v_add_f64 v[7:8], v[44:45], v[11:12]
	v_fma_f64 v[19:20], v[128:129], v[62:63], -v[19:20]
	v_add_f64 v[4:5], v[17:18], v[60:61]
	v_fma_f64 v[15:16], v[120:121], v[58:59], -v[15:16]
	v_fma_f64 v[25:26], v[136:137], v[84:85], v[25:26]
	v_fma_f64 v[90:91], v[140:141], v[92:93], v[54:55]
	v_add_f64 v[54:55], v[11:12], v[21:22]
	v_fma_f64 v[23:24], v[124:125], v[74:75], -v[23:24]
	v_fma_f64 v[94:95], v[140:141], v[94:95], -v[56:57]
	v_fma_f64 v[29:30], v[132:133], v[76:77], v[29:30]
	v_fma_f64 v[4:5], v[4:5], -0.5, v[64:65]
	v_add_f64 v[9:10], v[15:16], v[13:14]
	v_add_f64 v[56:57], v[15:16], -v[13:14]
	v_add_f64 v[15:16], v[46:47], v[15:16]
	v_fma_f64 v[54:55], v[54:55], -0.5, v[44:45]
	v_add_f64 v[44:45], v[7:8], v[21:22]
	v_fma_f64 v[7:8], v[9:10], -0.5, v[46:47]
	v_add_f64 v[9:10], v[11:12], -v[21:22]
	v_add_f64 v[11:12], v[19:20], v[23:24]
	v_fma_f64 v[52:53], v[56:57], s[2:3], v[54:55]
	v_fma_f64 v[56:57], v[56:57], s[4:5], v[54:55]
	v_add_f64 v[46:47], v[15:16], v[13:14]
	v_add_f64 v[13:14], v[64:65], v[17:18]
	v_add_f64 v[15:16], v[19:20], -v[23:24]
	v_add_f64 v[21:22], v[25:26], v[29:30]
	v_fma_f64 v[54:55], v[9:10], s[4:5], v[7:8]
	v_fma_f64 v[58:59], v[9:10], s[2:3], v[7:8]
	v_add_f64 v[7:8], v[66:67], v[19:20]
	v_fma_f64 v[9:10], v[11:12], -0.5, v[66:67]
	v_add_f64 v[11:12], v[17:18], -v[60:61]
	v_add_f64 v[60:61], v[13:14], v[60:61]
	v_fma_f64 v[64:65], v[15:16], s[2:3], v[4:5]
	v_fma_f64 v[72:73], v[15:16], s[4:5], v[4:5]
	v_add_f64 v[13:14], v[68:69], v[25:26]
	v_add_f64 v[4:5], v[27:28], v[78:79]
	;; [unrolled: 1-line block ×3, first 2 shown]
	v_fma_f64 v[17:18], v[21:22], -0.5, v[68:69]
	v_fma_f64 v[66:67], v[11:12], s[4:5], v[9:10]
	v_fma_f64 v[74:75], v[11:12], s[2:3], v[9:10]
	s_waitcnt vmcnt(0)
	ds_write_b128 v0, v[44:47]
	ds_write_b128 v0, v[52:55] offset:800
	ds_write_b128 v0, v[56:59] offset:1600
	;; [unrolled: 1-line block ×5, first 2 shown]
	buffer_load_dword v0, off, s[28:31], 0 offset:132 ; 4-byte Folded Reload
	v_add_f64 v[11:12], v[70:71], v[27:28]
	v_add_f64 v[19:20], v[27:28], -v[78:79]
	v_add_f64 v[68:69], v[13:14], v[29:30]
	v_fma_f64 v[4:5], v[4:5], -0.5, v[70:71]
	v_add_f64 v[13:14], v[25:26], -v[29:30]
	v_add_f64 v[7:8], v[86:87], v[90:91]
	v_add_f64 v[15:16], v[80:81], v[86:87]
	v_add_f64 v[21:22], v[86:87], -v[90:91]
	v_add_f64 v[70:71], v[11:12], v[78:79]
	v_fma_f64 v[76:77], v[19:20], s[2:3], v[17:18]
	v_fma_f64 v[84:85], v[19:20], s[4:5], v[17:18]
	v_add_f64 v[9:10], v[88:89], v[94:95]
	v_fma_f64 v[78:79], v[13:14], s[4:5], v[4:5]
	v_fma_f64 v[86:87], v[13:14], s[2:3], v[4:5]
	s_waitcnt vmcnt(0)
	ds_write_b128 v0, v[68:71]
	ds_write_b128 v0, v[76:79] offset:800
	ds_write_b128 v0, v[84:87] offset:1600
	buffer_load_dword v0, off, s[28:31], 0 offset:136 ; 4-byte Folded Reload
	v_add_f64 v[19:20], v[82:83], v[88:89]
	v_fma_f64 v[7:8], v[7:8], -0.5, v[80:81]
	v_add_f64 v[17:18], v[88:89], -v[94:95]
	v_fma_f64 v[9:10], v[9:10], -0.5, v[82:83]
	v_add_f64 v[80:81], v[15:16], v[90:91]
	v_add_f64 v[82:83], v[19:20], v[94:95]
	v_fma_f64 v[88:89], v[17:18], s[2:3], v[7:8]
	v_fma_f64 v[90:91], v[21:22], s[4:5], v[9:10]
	;; [unrolled: 1-line block ×4, first 2 shown]
	s_waitcnt vmcnt(0)
	ds_write_b128 v0, v[80:83] offset:4800
	ds_write_b128 v0, v[88:91] offset:5600
	ds_write_b128 v0, v[92:95] offset:6400
	s_waitcnt lgkmcnt(0)
	s_barrier
	ds_read_b128 v[0:3], v255 offset:2400
	ds_read_b128 v[40:43], v255
	ds_read_b128 v[44:47], v255 offset:480
	ds_read_b128 v[48:51], v255 offset:4800
	;; [unrolled: 1-line block ×10, first 2 shown]
	s_waitcnt lgkmcnt(11)
	v_mul_f64 v[4:5], v[154:155], v[2:3]
	v_mul_f64 v[7:8], v[154:155], v[0:1]
	s_waitcnt lgkmcnt(8)
	v_mul_f64 v[9:10], v[150:151], v[50:51]
	v_mul_f64 v[11:12], v[150:151], v[48:49]
	ds_read_b128 v[84:87], v255 offset:3840
	ds_read_b128 v[88:91], v255 offset:4320
	s_waitcnt lgkmcnt(8)
	v_mul_f64 v[13:14], v[162:163], v[58:59]
	v_mul_f64 v[15:16], v[158:159], v[52:53]
	s_waitcnt lgkmcnt(4)
	v_mul_f64 v[23:24], v[166:167], v[72:73]
	v_fma_f64 v[4:5], v[152:153], v[0:1], v[4:5]
	v_mul_f64 v[0:1], v[162:163], v[56:57]
	v_fma_f64 v[2:3], v[152:153], v[2:3], -v[7:8]
	v_mul_f64 v[7:8], v[158:159], v[54:55]
	v_fma_f64 v[9:10], v[148:149], v[48:49], v[9:10]
	v_fma_f64 v[11:12], v[148:149], v[50:51], -v[11:12]
	s_waitcnt lgkmcnt(1)
	v_mul_f64 v[27:28], v[178:179], v[84:85]
	s_waitcnt lgkmcnt(0)
	v_mul_f64 v[50:51], v[186:187], v[90:91]
	v_fma_f64 v[13:14], v[160:161], v[56:57], v[13:14]
	v_fma_f64 v[19:20], v[160:161], v[58:59], -v[0:1]
	v_mul_f64 v[0:1], v[170:171], v[60:61]
	v_fma_f64 v[7:8], v[156:157], v[52:53], v[7:8]
	v_mul_f64 v[52:53], v[186:187], v[88:89]
	v_fma_f64 v[15:16], v[156:157], v[54:55], -v[15:16]
	v_mul_f64 v[25:26], v[178:179], v[86:87]
	v_mul_f64 v[48:49], v[174:175], v[76:77]
	v_fma_f64 v[27:28], v[176:177], v[86:87], -v[27:28]
	v_fma_f64 v[88:89], v[184:185], v[88:89], v[50:51]
	v_fma_f64 v[29:30], v[168:169], v[62:63], -v[0:1]
	v_mul_f64 v[0:1], v[174:175], v[78:79]
	v_add_f64 v[50:51], v[40:41], v[4:5]
	v_fma_f64 v[90:91], v[184:185], v[90:91], -v[52:53]
	v_add_f64 v[52:53], v[2:3], v[11:12]
	v_add_f64 v[58:59], v[2:3], -v[11:12]
	v_add_f64 v[2:3], v[42:43], v[2:3]
	ds_read_b128 v[92:95], v255 offset:6720
	v_mul_f64 v[17:18], v[170:171], v[62:63]
	v_fma_f64 v[86:87], v[172:173], v[76:77], v[0:1]
	v_add_f64 v[0:1], v[4:5], v[9:10]
	v_mul_f64 v[21:22], v[166:167], v[74:75]
	v_fma_f64 v[23:24], v[164:165], v[74:75], -v[23:24]
	v_fma_f64 v[78:79], v[172:173], v[78:79], -v[48:49]
	s_waitcnt lgkmcnt(0)
	v_mul_f64 v[48:49], v[182:183], v[94:95]
	v_mul_f64 v[54:55], v[182:183], v[92:93]
	v_add_f64 v[4:5], v[4:5], -v[9:10]
	v_add_f64 v[2:3], v[2:3], v[11:12]
	v_fma_f64 v[56:57], v[0:1], -0.5, v[40:41]
	v_add_f64 v[0:1], v[50:51], v[9:10]
	v_add_f64 v[50:51], v[13:14], v[7:8]
	;; [unrolled: 1-line block ×4, first 2 shown]
	v_fma_f64 v[17:18], v[168:169], v[60:61], v[17:18]
	v_fma_f64 v[21:22], v[164:165], v[72:73], v[21:22]
	v_fma_f64 v[52:53], v[52:53], -0.5, v[42:43]
	v_fma_f64 v[25:26], v[176:177], v[84:85], v[25:26]
	v_fma_f64 v[92:93], v[180:181], v[92:93], v[48:49]
	v_fma_f64 v[94:95], v[180:181], v[94:95], -v[54:55]
	v_fma_f64 v[40:41], v[58:59], s[2:3], v[56:57]
	v_fma_f64 v[48:49], v[58:59], s[4:5], v[56:57]
	v_fma_f64 v[54:55], v[50:51], -0.5, v[44:45]
	v_add_f64 v[56:57], v[19:20], -v[15:16]
	v_add_f64 v[19:20], v[46:47], v[19:20]
	v_add_f64 v[44:45], v[9:10], v[7:8]
	v_fma_f64 v[9:10], v[11:12], -0.5, v[46:47]
	v_add_f64 v[7:8], v[13:14], -v[7:8]
	v_add_f64 v[11:12], v[29:30], v[23:24]
	v_fma_f64 v[42:43], v[4:5], s[4:5], v[52:53]
	v_fma_f64 v[50:51], v[4:5], s[2:3], v[52:53]
	v_add_f64 v[4:5], v[17:18], v[21:22]
	v_fma_f64 v[52:53], v[56:57], s[2:3], v[54:55]
	v_fma_f64 v[56:57], v[56:57], s[4:5], v[54:55]
	v_add_f64 v[46:47], v[19:20], v[15:16]
	v_fma_f64 v[54:55], v[7:8], s[4:5], v[9:10]
	v_add_f64 v[19:20], v[25:26], v[86:87]
	;; [unrolled: 2-line block ×3, first 2 shown]
	v_fma_f64 v[9:10], v[11:12], -0.5, v[66:67]
	v_add_f64 v[11:12], v[17:18], -v[21:22]
	v_add_f64 v[13:14], v[64:65], v[17:18]
	v_fma_f64 v[4:5], v[4:5], -0.5, v[64:65]
	v_add_f64 v[15:16], v[29:30], -v[23:24]
	v_fma_f64 v[17:18], v[19:20], -0.5, v[68:69]
	v_add_f64 v[19:20], v[27:28], -v[78:79]
	v_add_f64 v[62:63], v[7:8], v[23:24]
	v_add_f64 v[7:8], v[88:89], v[92:93]
	v_fma_f64 v[66:67], v[11:12], s[4:5], v[9:10]
	v_fma_f64 v[74:75], v[11:12], s[2:3], v[9:10]
	v_add_f64 v[9:10], v[90:91], v[94:95]
	v_add_f64 v[60:61], v[13:14], v[21:22]
	v_fma_f64 v[64:65], v[15:16], s[2:3], v[4:5]
	v_add_f64 v[13:14], v[68:69], v[25:26]
	v_fma_f64 v[72:73], v[15:16], s[4:5], v[4:5]
	;; [unrolled: 2-line block ×3, first 2 shown]
	v_fma_f64 v[84:85], v[19:20], s[4:5], v[17:18]
	v_fma_f64 v[7:8], v[7:8], -0.5, v[80:81]
	v_add_f64 v[17:18], v[90:91], -v[94:95]
	v_fma_f64 v[9:10], v[9:10], -0.5, v[82:83]
	v_add_f64 v[21:22], v[88:89], -v[92:93]
	v_add_f64 v[15:16], v[80:81], v[88:89]
	v_add_f64 v[19:20], v[82:83], v[90:91]
	;; [unrolled: 1-line block ×4, first 2 shown]
	v_fma_f64 v[4:5], v[4:5], -0.5, v[70:71]
	v_add_f64 v[13:14], v[25:26], -v[86:87]
	v_fma_f64 v[88:89], v[17:18], s[2:3], v[7:8]
	v_fma_f64 v[90:91], v[21:22], s[4:5], v[9:10]
	v_add_f64 v[80:81], v[15:16], v[92:93]
	v_fma_f64 v[92:93], v[17:18], s[4:5], v[7:8]
	v_add_f64 v[82:83], v[19:20], v[94:95]
	;; [unrolled: 2-line block ×3, first 2 shown]
	v_fma_f64 v[78:79], v[13:14], s[4:5], v[4:5]
	v_fma_f64 v[86:87], v[13:14], s[2:3], v[4:5]
	ds_write_b128 v255, v[0:3]
	ds_write_b128 v6, v[40:43] offset:2400
	ds_write_b128 v6, v[48:51] offset:4800
	;; [unrolled: 1-line block ×12, first 2 shown]
	v_add_u32_e32 v0, 0x780, v255
	ds_write_b128 v0, v[88:91] offset:2400
	ds_write_b128 v0, v[92:95] offset:4800
	s_waitcnt lgkmcnt(0)
	s_barrier
	ds_read_b128 v[0:3], v255
	ds_read_b128 v[40:43], v255 offset:720
	buffer_load_dword v15, off, s[28:31], 0 offset:112 ; 4-byte Folded Reload
	buffer_load_dword v16, off, s[28:31], 0 offset:116 ; 4-byte Folded Reload
	;; [unrolled: 1-line block ×4, first 2 shown]
	v_mad_u64_u32 v[4:5], s[2:3], s10, v31, 0
	s_waitcnt lgkmcnt(1)
	v_mul_f64 v[7:8], v[38:39], v[2:3]
	v_mul_f64 v[9:10], v[38:39], v[0:1]
	v_mad_u64_u32 v[11:12], s[2:3], s11, v31, v[5:6]
	v_mad_u64_u32 v[12:13], s[2:3], s8, v250, 0
	v_mov_b32_e32 v5, v11
	v_lshlrev_b64 v[4:5], 4, v[4:5]
	v_fma_f64 v[0:1], v[36:37], v[0:1], v[7:8]
	v_mov_b32_e32 v7, v13
	v_mad_u64_u32 v[7:8], s[2:3], s9, v250, v[7:8]
	v_fma_f64 v[2:3], v[36:37], v[2:3], -v[9:10]
	s_mov_b32 s2, 0x789abcdf
	v_mov_b32_e32 v13, v7
	s_mov_b32 s3, 0x3f623456
	v_mul_f64 v[0:1], v[0:1], s[2:3]
	v_mov_b32_e32 v11, s7
	v_add_co_u32_e32 v14, vcc, s6, v4
	v_mul_f64 v[2:3], v[2:3], s[2:3]
	ds_read_b128 v[28:31], v255 offset:1440
	ds_read_b128 v[36:39], v255 offset:2160
	v_addc_co_u32_e32 v11, vcc, v11, v5, vcc
	v_lshlrev_b64 v[4:5], 4, v[12:13]
	s_mul_i32 s4, s9, 45
	v_add_co_u32_e32 v4, vcc, v14, v4
	v_addc_co_u32_e32 v5, vcc, v11, v5, vcc
	global_store_dwordx4 v[4:5], v[0:3], off
	s_mul_hi_u32 s5, s8, 45
	s_add_i32 s5, s5, s4
	s_mul_i32 s4, s8, 45
	s_lshl_b64 s[4:5], s[4:5], 4
	v_mov_b32_e32 v19, s5
	v_add_co_u32_e32 v4, vcc, s4, v4
	v_addc_co_u32_e32 v5, vcc, v5, v19, vcc
	s_waitcnt vmcnt(1) lgkmcnt(2)
	v_mul_f64 v[7:8], v[17:18], v[42:43]
	v_mul_f64 v[9:10], v[17:18], v[40:41]
	v_fma_f64 v[7:8], v[15:16], v[40:41], v[7:8]
	v_fma_f64 v[9:10], v[15:16], v[42:43], -v[9:10]
	buffer_load_dword v15, off, s[28:31], 0 offset:32 ; 4-byte Folded Reload
	buffer_load_dword v16, off, s[28:31], 0 offset:36 ; 4-byte Folded Reload
	;; [unrolled: 1-line block ×4, first 2 shown]
	v_mul_f64 v[0:1], v[7:8], s[2:3]
	v_mul_f64 v[2:3], v[9:10], s[2:3]
	s_waitcnt lgkmcnt(1)
	v_mul_f64 v[7:8], v[34:35], v[30:31]
	v_mul_f64 v[9:10], v[34:35], v[28:29]
	global_store_dwordx4 v[4:5], v[0:3], off
	v_fma_f64 v[7:8], v[32:33], v[28:29], v[7:8]
	v_fma_f64 v[9:10], v[32:33], v[30:31], -v[9:10]
	ds_read_b128 v[28:31], v255 offset:2880
	v_add_co_u32_e32 v4, vcc, s4, v4
	v_addc_co_u32_e32 v5, vcc, v5, v19, vcc
	v_mul_f64 v[0:1], v[7:8], s[2:3]
	v_mul_f64 v[2:3], v[9:10], s[2:3]
	ds_read_b128 v[7:10], v255 offset:3600
	buffer_load_dword v20, off, s[28:31], 0 offset:80 ; 4-byte Folded Reload
	buffer_load_dword v21, off, s[28:31], 0 offset:84 ; 4-byte Folded Reload
	;; [unrolled: 1-line block ×4, first 2 shown]
	s_waitcnt vmcnt(5) lgkmcnt(2)
	v_mul_f64 v[11:12], v[17:18], v[38:39]
	global_store_dwordx4 v[4:5], v[0:3], off
	buffer_load_dword v24, off, s[28:31], 0 offset:16 ; 4-byte Folded Reload
	buffer_load_dword v25, off, s[28:31], 0 offset:20 ; 4-byte Folded Reload
	;; [unrolled: 1-line block ×4, first 2 shown]
	v_mul_f64 v[13:14], v[17:18], v[36:37]
	v_add_co_u32_e32 v4, vcc, s4, v4
	v_addc_co_u32_e32 v5, vcc, v5, v19, vcc
	v_fma_f64 v[11:12], v[15:16], v[36:37], v[11:12]
	v_fma_f64 v[13:14], v[15:16], v[38:39], -v[13:14]
	v_mul_f64 v[0:1], v[11:12], s[2:3]
	v_mul_f64 v[2:3], v[13:14], s[2:3]
	s_waitcnt vmcnt(5) lgkmcnt(1)
	v_mul_f64 v[15:16], v[22:23], v[30:31]
	v_mul_f64 v[17:18], v[22:23], v[28:29]
	global_store_dwordx4 v[4:5], v[0:3], off
	v_add_co_u32_e32 v4, vcc, s4, v4
	v_addc_co_u32_e32 v5, vcc, v5, v19, vcc
	v_fma_f64 v[11:12], v[20:21], v[28:29], v[15:16]
	v_fma_f64 v[13:14], v[20:21], v[30:31], -v[17:18]
	ds_read_b128 v[20:23], v255 offset:4320
	v_mul_f64 v[0:1], v[11:12], s[2:3]
	v_mul_f64 v[2:3], v[13:14], s[2:3]
	s_waitcnt vmcnt(1) lgkmcnt(1)
	v_mul_f64 v[15:16], v[26:27], v[9:10]
	v_mul_f64 v[17:18], v[26:27], v[7:8]
	v_fma_f64 v[11:12], v[24:25], v[7:8], v[15:16]
	v_fma_f64 v[13:14], v[24:25], v[9:10], -v[17:18]
	ds_read_b128 v[7:10], v255 offset:5040
	buffer_load_dword v24, off, s[28:31], 0 offset:96 ; 4-byte Folded Reload
	buffer_load_dword v25, off, s[28:31], 0 offset:100 ; 4-byte Folded Reload
	;; [unrolled: 1-line block ×4, first 2 shown]
	s_waitcnt vmcnt(0) lgkmcnt(1)
	v_mul_f64 v[15:16], v[26:27], v[22:23]
	global_store_dwordx4 v[4:5], v[0:3], off
	buffer_load_dword v28, off, s[28:31], 0 ; 4-byte Folded Reload
	buffer_load_dword v29, off, s[28:31], 0 offset:4 ; 4-byte Folded Reload
	buffer_load_dword v30, off, s[28:31], 0 offset:8 ; 4-byte Folded Reload
	;; [unrolled: 1-line block ×3, first 2 shown]
	v_mul_f64 v[17:18], v[26:27], v[20:21]
	v_mul_f64 v[0:1], v[11:12], s[2:3]
	;; [unrolled: 1-line block ×3, first 2 shown]
	v_add_co_u32_e32 v4, vcc, s4, v4
	v_fma_f64 v[11:12], v[24:25], v[20:21], v[15:16]
	v_addc_co_u32_e32 v5, vcc, v5, v19, vcc
	v_fma_f64 v[13:14], v[24:25], v[22:23], -v[17:18]
	ds_read_b128 v[20:23], v255 offset:5760
	ds_read_b128 v[24:27], v255 offset:6480
	global_store_dwordx4 v[4:5], v[0:3], off
	v_add_co_u32_e32 v4, vcc, s4, v4
	v_mul_f64 v[0:1], v[11:12], s[2:3]
	v_addc_co_u32_e32 v5, vcc, v5, v19, vcc
	v_mul_f64 v[2:3], v[13:14], s[2:3]
	s_waitcnt vmcnt(1) lgkmcnt(2)
	v_mul_f64 v[15:16], v[30:31], v[9:10]
	v_mul_f64 v[17:18], v[30:31], v[7:8]
	v_fma_f64 v[7:8], v[28:29], v[7:8], v[15:16]
	v_fma_f64 v[9:10], v[28:29], v[9:10], -v[17:18]
	buffer_load_dword v28, off, s[28:31], 0 offset:48 ; 4-byte Folded Reload
	buffer_load_dword v29, off, s[28:31], 0 offset:52 ; 4-byte Folded Reload
	buffer_load_dword v30, off, s[28:31], 0 offset:56 ; 4-byte Folded Reload
	buffer_load_dword v31, off, s[28:31], 0 offset:60 ; 4-byte Folded Reload
	s_waitcnt vmcnt(0) lgkmcnt(1)
	v_mul_f64 v[11:12], v[30:31], v[22:23]
	v_mul_f64 v[13:14], v[30:31], v[20:21]
	buffer_load_dword v30, off, s[28:31], 0 offset:64 ; 4-byte Folded Reload
	buffer_load_dword v31, off, s[28:31], 0 offset:68 ; 4-byte Folded Reload
	;; [unrolled: 1-line block ×4, first 2 shown]
	s_waitcnt vmcnt(0) lgkmcnt(0)
	v_mul_f64 v[15:16], v[32:33], v[26:27]
	v_mul_f64 v[17:18], v[32:33], v[24:25]
	global_store_dwordx4 v[4:5], v[0:3], off
	s_nop 0
	v_mul_f64 v[0:1], v[7:8], s[2:3]
	v_mul_f64 v[2:3], v[9:10], s[2:3]
	v_fma_f64 v[7:8], v[28:29], v[20:21], v[11:12]
	v_fma_f64 v[9:10], v[28:29], v[22:23], -v[13:14]
	v_fma_f64 v[11:12], v[30:31], v[24:25], v[15:16]
	v_fma_f64 v[13:14], v[30:31], v[26:27], -v[17:18]
	v_add_co_u32_e32 v15, vcc, s4, v4
	v_addc_co_u32_e32 v16, vcc, v5, v19, vcc
	v_mul_f64 v[7:8], v[7:8], s[2:3]
	v_mul_f64 v[9:10], v[9:10], s[2:3]
	global_store_dwordx4 v[15:16], v[0:3], off
	v_mul_f64 v[4:5], v[13:14], s[2:3]
	v_mul_f64 v[2:3], v[11:12], s[2:3]
	v_add_co_u32_e32 v0, vcc, s4, v15
	v_addc_co_u32_e32 v1, vcc, v16, v19, vcc
	global_store_dwordx4 v[0:1], v[7:10], off
	v_add_co_u32_e32 v0, vcc, s4, v0
	v_addc_co_u32_e32 v1, vcc, v1, v19, vcc
	global_store_dwordx4 v[0:1], v[2:5], off
	s_and_b64 exec, exec, s[0:1]
	s_cbranch_execz .LBB0_15
; %bb.14:
	global_load_dwordx4 v[2:5], v[248:249], off offset:480
	ds_read_b128 v[7:10], v6 offset:480
	ds_read_b128 v[11:14], v6 offset:1920
	s_waitcnt vmcnt(0) lgkmcnt(1)
	v_mul_f64 v[15:16], v[9:10], v[4:5]
	v_mul_f64 v[4:5], v[7:8], v[4:5]
	v_fma_f64 v[6:7], v[7:8], v[2:3], v[15:16]
	v_fma_f64 v[4:5], v[2:3], v[9:10], -v[4:5]
	v_mul_f64 v[2:3], v[6:7], s[2:3]
	v_mul_f64 v[4:5], v[4:5], s[2:3]
	v_mov_b32_e32 v6, 0xffffe890
	v_mad_u64_u32 v[8:9], s[0:1], s8, v6, v[0:1]
	s_mul_i32 s0, s9, 0xffffe890
	s_sub_i32 s0, s0, s8
	v_add_u32_e32 v9, s0, v9
	s_movk_i32 s0, 0x1000
	global_store_dwordx4 v[8:9], v[2:5], off
	global_load_dwordx4 v[0:3], v[248:249], off offset:1200
	ds_read_b128 v[4:7], v255 offset:1200
	ds_read_b128 v[15:18], v255 offset:2640
	s_waitcnt vmcnt(0) lgkmcnt(1)
	v_mul_f64 v[19:20], v[6:7], v[2:3]
	v_mul_f64 v[2:3], v[4:5], v[2:3]
	v_fma_f64 v[4:5], v[4:5], v[0:1], v[19:20]
	v_fma_f64 v[2:3], v[0:1], v[6:7], -v[2:3]
	v_mov_b32_e32 v19, s5
	v_mul_f64 v[0:1], v[4:5], s[2:3]
	v_mul_f64 v[2:3], v[2:3], s[2:3]
	v_add_co_u32_e32 v4, vcc, s4, v8
	v_addc_co_u32_e32 v5, vcc, v9, v19, vcc
	global_store_dwordx4 v[4:5], v[0:3], off
	global_load_dwordx4 v[0:3], v[248:249], off offset:1920
	v_add_co_u32_e32 v4, vcc, s4, v4
	v_addc_co_u32_e32 v5, vcc, v5, v19, vcc
	s_waitcnt vmcnt(0)
	v_mul_f64 v[6:7], v[13:14], v[2:3]
	v_mul_f64 v[2:3], v[11:12], v[2:3]
	v_fma_f64 v[6:7], v[11:12], v[0:1], v[6:7]
	v_fma_f64 v[2:3], v[0:1], v[13:14], -v[2:3]
	v_add_co_u32_e32 v12, vcc, s4, v4
	v_addc_co_u32_e32 v13, vcc, v5, v19, vcc
	v_mul_f64 v[0:1], v[6:7], s[2:3]
	v_mul_f64 v[2:3], v[2:3], s[2:3]
	global_store_dwordx4 v[4:5], v[0:3], off
	global_load_dwordx4 v[0:3], v[248:249], off offset:2640
	s_waitcnt vmcnt(0) lgkmcnt(0)
	v_mul_f64 v[6:7], v[17:18], v[2:3]
	v_mul_f64 v[2:3], v[15:16], v[2:3]
	v_fma_f64 v[6:7], v[15:16], v[0:1], v[6:7]
	v_fma_f64 v[2:3], v[0:1], v[17:18], -v[2:3]
	v_mul_f64 v[0:1], v[6:7], s[2:3]
	v_mul_f64 v[2:3], v[2:3], s[2:3]
	global_store_dwordx4 v[12:13], v[0:3], off
	global_load_dwordx4 v[0:3], v[248:249], off offset:3360
	ds_read_b128 v[4:7], v255 offset:3360
	ds_read_b128 v[8:11], v255 offset:4080
	s_waitcnt vmcnt(0) lgkmcnt(1)
	v_mul_f64 v[14:15], v[6:7], v[2:3]
	v_mul_f64 v[2:3], v[4:5], v[2:3]
	v_fma_f64 v[4:5], v[4:5], v[0:1], v[14:15]
	v_fma_f64 v[2:3], v[0:1], v[6:7], -v[2:3]
	v_mul_f64 v[0:1], v[4:5], s[2:3]
	v_mul_f64 v[2:3], v[2:3], s[2:3]
	v_add_co_u32_e32 v4, vcc, s4, v12
	v_addc_co_u32_e32 v5, vcc, v13, v19, vcc
	v_add_co_u32_e32 v12, vcc, s0, v248
	v_addc_co_u32_e32 v13, vcc, 0, v249, vcc
	global_store_dwordx4 v[4:5], v[0:3], off
	global_load_dwordx4 v[0:3], v[248:249], off offset:4080
	v_add_co_u32_e32 v14, vcc, s4, v4
	v_addc_co_u32_e32 v15, vcc, v5, v19, vcc
	s_waitcnt vmcnt(0) lgkmcnt(0)
	v_mul_f64 v[6:7], v[10:11], v[2:3]
	v_mul_f64 v[2:3], v[8:9], v[2:3]
	v_fma_f64 v[6:7], v[8:9], v[0:1], v[6:7]
	v_fma_f64 v[2:3], v[0:1], v[10:11], -v[2:3]
	v_mul_f64 v[0:1], v[6:7], s[2:3]
	v_mul_f64 v[2:3], v[2:3], s[2:3]
	global_store_dwordx4 v[14:15], v[0:3], off
	global_load_dwordx4 v[0:3], v[12:13], off offset:704
	ds_read_b128 v[4:7], v255 offset:4800
	ds_read_b128 v[8:11], v255 offset:5520
	s_waitcnt vmcnt(0) lgkmcnt(1)
	v_mul_f64 v[16:17], v[6:7], v[2:3]
	v_mul_f64 v[2:3], v[4:5], v[2:3]
	v_fma_f64 v[4:5], v[4:5], v[0:1], v[16:17]
	v_fma_f64 v[2:3], v[0:1], v[6:7], -v[2:3]
	v_mul_f64 v[0:1], v[4:5], s[2:3]
	v_mul_f64 v[2:3], v[2:3], s[2:3]
	v_add_co_u32_e32 v4, vcc, s4, v14
	v_addc_co_u32_e32 v5, vcc, v15, v19, vcc
	v_add_co_u32_e32 v14, vcc, s4, v4
	v_addc_co_u32_e32 v15, vcc, v5, v19, vcc
	global_store_dwordx4 v[4:5], v[0:3], off
	global_load_dwordx4 v[0:3], v[12:13], off offset:1424
	s_waitcnt vmcnt(0) lgkmcnt(0)
	v_mul_f64 v[6:7], v[10:11], v[2:3]
	v_mul_f64 v[2:3], v[8:9], v[2:3]
	v_fma_f64 v[6:7], v[8:9], v[0:1], v[6:7]
	v_fma_f64 v[2:3], v[0:1], v[10:11], -v[2:3]
	v_mul_f64 v[0:1], v[6:7], s[2:3]
	v_mul_f64 v[2:3], v[2:3], s[2:3]
	global_store_dwordx4 v[14:15], v[0:3], off
	global_load_dwordx4 v[0:3], v[12:13], off offset:2144
	ds_read_b128 v[4:7], v255 offset:6240
	ds_read_b128 v[8:11], v255 offset:6960
	s_waitcnt vmcnt(0) lgkmcnt(1)
	v_mul_f64 v[16:17], v[6:7], v[2:3]
	v_mul_f64 v[2:3], v[4:5], v[2:3]
	v_fma_f64 v[4:5], v[4:5], v[0:1], v[16:17]
	v_fma_f64 v[2:3], v[0:1], v[6:7], -v[2:3]
	v_mul_f64 v[0:1], v[4:5], s[2:3]
	v_mul_f64 v[2:3], v[2:3], s[2:3]
	v_add_co_u32_e32 v4, vcc, s4, v14
	v_addc_co_u32_e32 v5, vcc, v15, v19, vcc
	global_store_dwordx4 v[4:5], v[0:3], off
	global_load_dwordx4 v[0:3], v[12:13], off offset:2864
	v_add_co_u32_e32 v4, vcc, s4, v4
	v_addc_co_u32_e32 v5, vcc, v5, v19, vcc
	s_waitcnt vmcnt(0) lgkmcnt(0)
	v_mul_f64 v[6:7], v[10:11], v[2:3]
	v_mul_f64 v[2:3], v[8:9], v[2:3]
	v_fma_f64 v[6:7], v[8:9], v[0:1], v[6:7]
	v_fma_f64 v[2:3], v[0:1], v[10:11], -v[2:3]
	v_mul_f64 v[0:1], v[6:7], s[2:3]
	v_mul_f64 v[2:3], v[2:3], s[2:3]
	global_store_dwordx4 v[4:5], v[0:3], off
.LBB0_15:
	s_endpgm
	.section	.rodata,"a",@progbits
	.p2align	6, 0x0
	.amdhsa_kernel bluestein_single_fwd_len450_dim1_dp_op_CI_CI
		.amdhsa_group_segment_fixed_size 28800
		.amdhsa_private_segment_fixed_size 152
		.amdhsa_kernarg_size 104
		.amdhsa_user_sgpr_count 6
		.amdhsa_user_sgpr_private_segment_buffer 1
		.amdhsa_user_sgpr_dispatch_ptr 0
		.amdhsa_user_sgpr_queue_ptr 0
		.amdhsa_user_sgpr_kernarg_segment_ptr 1
		.amdhsa_user_sgpr_dispatch_id 0
		.amdhsa_user_sgpr_flat_scratch_init 0
		.amdhsa_user_sgpr_private_segment_size 0
		.amdhsa_uses_dynamic_stack 0
		.amdhsa_system_sgpr_private_segment_wavefront_offset 1
		.amdhsa_system_sgpr_workgroup_id_x 1
		.amdhsa_system_sgpr_workgroup_id_y 0
		.amdhsa_system_sgpr_workgroup_id_z 0
		.amdhsa_system_sgpr_workgroup_info 0
		.amdhsa_system_vgpr_workitem_id 0
		.amdhsa_next_free_vgpr 256
		.amdhsa_next_free_sgpr 32
		.amdhsa_reserve_vcc 1
		.amdhsa_reserve_flat_scratch 0
		.amdhsa_float_round_mode_32 0
		.amdhsa_float_round_mode_16_64 0
		.amdhsa_float_denorm_mode_32 3
		.amdhsa_float_denorm_mode_16_64 3
		.amdhsa_dx10_clamp 1
		.amdhsa_ieee_mode 1
		.amdhsa_fp16_overflow 0
		.amdhsa_exception_fp_ieee_invalid_op 0
		.amdhsa_exception_fp_denorm_src 0
		.amdhsa_exception_fp_ieee_div_zero 0
		.amdhsa_exception_fp_ieee_overflow 0
		.amdhsa_exception_fp_ieee_underflow 0
		.amdhsa_exception_fp_ieee_inexact 0
		.amdhsa_exception_int_div_zero 0
	.end_amdhsa_kernel
	.text
.Lfunc_end0:
	.size	bluestein_single_fwd_len450_dim1_dp_op_CI_CI, .Lfunc_end0-bluestein_single_fwd_len450_dim1_dp_op_CI_CI
                                        ; -- End function
	.section	.AMDGPU.csdata,"",@progbits
; Kernel info:
; codeLenInByte = 20472
; NumSgprs: 36
; NumVgprs: 256
; ScratchSize: 152
; MemoryBound: 0
; FloatMode: 240
; IeeeMode: 1
; LDSByteSize: 28800 bytes/workgroup (compile time only)
; SGPRBlocks: 4
; VGPRBlocks: 63
; NumSGPRsForWavesPerEU: 36
; NumVGPRsForWavesPerEU: 256
; Occupancy: 1
; WaveLimiterHint : 1
; COMPUTE_PGM_RSRC2:SCRATCH_EN: 1
; COMPUTE_PGM_RSRC2:USER_SGPR: 6
; COMPUTE_PGM_RSRC2:TRAP_HANDLER: 0
; COMPUTE_PGM_RSRC2:TGID_X_EN: 1
; COMPUTE_PGM_RSRC2:TGID_Y_EN: 0
; COMPUTE_PGM_RSRC2:TGID_Z_EN: 0
; COMPUTE_PGM_RSRC2:TIDIG_COMP_CNT: 0
	.type	__hip_cuid_37898af6c0c8a706,@object ; @__hip_cuid_37898af6c0c8a706
	.section	.bss,"aw",@nobits
	.globl	__hip_cuid_37898af6c0c8a706
__hip_cuid_37898af6c0c8a706:
	.byte	0                               ; 0x0
	.size	__hip_cuid_37898af6c0c8a706, 1

	.ident	"AMD clang version 19.0.0git (https://github.com/RadeonOpenCompute/llvm-project roc-6.4.0 25133 c7fe45cf4b819c5991fe208aaa96edf142730f1d)"
	.section	".note.GNU-stack","",@progbits
	.addrsig
	.addrsig_sym __hip_cuid_37898af6c0c8a706
	.amdgpu_metadata
---
amdhsa.kernels:
  - .args:
      - .actual_access:  read_only
        .address_space:  global
        .offset:         0
        .size:           8
        .value_kind:     global_buffer
      - .actual_access:  read_only
        .address_space:  global
        .offset:         8
        .size:           8
        .value_kind:     global_buffer
      - .actual_access:  read_only
        .address_space:  global
        .offset:         16
        .size:           8
        .value_kind:     global_buffer
      - .actual_access:  read_only
        .address_space:  global
        .offset:         24
        .size:           8
        .value_kind:     global_buffer
      - .actual_access:  read_only
        .address_space:  global
        .offset:         32
        .size:           8
        .value_kind:     global_buffer
      - .offset:         40
        .size:           8
        .value_kind:     by_value
      - .address_space:  global
        .offset:         48
        .size:           8
        .value_kind:     global_buffer
      - .address_space:  global
        .offset:         56
        .size:           8
        .value_kind:     global_buffer
      - .address_space:  global
        .offset:         64
        .size:           8
        .value_kind:     global_buffer
      - .address_space:  global
        .offset:         72
        .size:           8
        .value_kind:     global_buffer
      - .offset:         80
        .size:           4
        .value_kind:     by_value
      - .address_space:  global
        .offset:         88
        .size:           8
        .value_kind:     global_buffer
      - .address_space:  global
        .offset:         96
        .size:           8
        .value_kind:     global_buffer
    .group_segment_fixed_size: 28800
    .kernarg_segment_align: 8
    .kernarg_segment_size: 104
    .language:       OpenCL C
    .language_version:
      - 2
      - 0
    .max_flat_workgroup_size: 120
    .name:           bluestein_single_fwd_len450_dim1_dp_op_CI_CI
    .private_segment_fixed_size: 152
    .sgpr_count:     36
    .sgpr_spill_count: 0
    .symbol:         bluestein_single_fwd_len450_dim1_dp_op_CI_CI.kd
    .uniform_work_group_size: 1
    .uses_dynamic_stack: false
    .vgpr_count:     256
    .vgpr_spill_count: 37
    .wavefront_size: 64
amdhsa.target:   amdgcn-amd-amdhsa--gfx906
amdhsa.version:
  - 1
  - 2
...

	.end_amdgpu_metadata
